;; amdgpu-corpus repo=ROCm/rocFFT kind=compiled arch=gfx950 opt=O3
	.text
	.amdgcn_target "amdgcn-amd-amdhsa--gfx950"
	.amdhsa_code_object_version 6
	.protected	bluestein_single_fwd_len1632_dim1_half_op_CI_CI ; -- Begin function bluestein_single_fwd_len1632_dim1_half_op_CI_CI
	.globl	bluestein_single_fwd_len1632_dim1_half_op_CI_CI
	.p2align	8
	.type	bluestein_single_fwd_len1632_dim1_half_op_CI_CI,@function
bluestein_single_fwd_len1632_dim1_half_op_CI_CI: ; @bluestein_single_fwd_len1632_dim1_half_op_CI_CI
; %bb.0:
	s_load_dwordx4 s[8:11], s[0:1], 0x28
	v_mul_u32_u24_e32 v1, 0x283, v0
	v_mov_b32_e32 v17, 0
	v_add_u32_sdwa v20, s2, v1 dst_sel:DWORD dst_unused:UNUSED_PAD src0_sel:DWORD src1_sel:WORD_1
	v_mov_b32_e32 v21, v17
	s_waitcnt lgkmcnt(0)
	v_cmp_gt_u64_e32 vcc, s[8:9], v[20:21]
	s_and_saveexec_b64 s[2:3], vcc
	s_cbranch_execz .LBB0_23
; %bb.1:
	s_load_dwordx2 s[12:13], s[0:1], 0x0
	s_load_dwordx2 s[14:15], s[0:1], 0x38
	s_movk_i32 s2, 0x66
	v_mul_lo_u16_sdwa v1, v1, s2 dst_sel:DWORD dst_unused:UNUSED_PAD src0_sel:WORD_1 src1_sel:DWORD
	v_sub_u16_e32 v16, v0, v1
	s_movk_i32 s2, 0x60
	v_cmp_gt_u16_e32 vcc, s2, v16
	v_lshlrev_b32_e32 v18, 2, v16
	s_and_saveexec_b64 s[8:9], vcc
	s_cbranch_execz .LBB0_3
; %bb.2:
	s_load_dwordx2 s[2:3], s[0:1], 0x18
	v_mov_b32_e32 v0, s10
	v_mov_b32_e32 v1, s11
	;; [unrolled: 1-line block ×3, first 2 shown]
	v_or_b32_e32 v30, 0x600, v16
	s_waitcnt lgkmcnt(0)
	s_load_dwordx4 s[4:7], s[2:3], 0x0
	v_mov_b32_e32 v19, 0
	v_mov_b32_e32 v26, 0x300
	v_add_u32_e32 v25, 0x200, v18
	s_waitcnt lgkmcnt(0)
	v_mad_u64_u32 v[2:3], s[2:3], s6, v20, 0
	v_mad_u64_u32 v[4:5], s[2:3], s4, v16, 0
	v_mov_b32_e32 v6, v3
	v_mov_b32_e32 v8, v5
	v_mad_u64_u32 v[6:7], s[2:3], s7, v20, v[6:7]
	v_mov_b32_e32 v3, v6
	v_mad_u64_u32 v[6:7], s[2:3], s5, v16, v[8:9]
	v_mov_b32_e32 v5, v6
	v_lshl_add_u64 v[0:1], v[2:3], 2, v[0:1]
	v_or_b32_e32 v7, 0x180, v16
	v_lshl_add_u64 v[2:3], v[4:5], 2, v[0:1]
	v_mad_u64_u32 v[4:5], s[2:3], s4, v7, 0
	v_mov_b32_e32 v6, v5
	v_mad_u64_u32 v[6:7], s[2:3], s5, v7, v[6:7]
	v_mov_b32_e32 v5, v6
	v_lshl_add_u64 v[4:5], v[4:5], 2, v[0:1]
	global_load_dword v11, v[2:3], off
	global_load_dword v12, v[4:5], off
	global_load_dword v13, v18, s[12:13]
	v_mad_u64_u32 v[2:3], s[2:3], s4, v10, v[2:3]
	s_mul_i32 s6, s5, 0x180
	v_add_u32_e32 v3, s6, v3
	global_load_dword v14, v[2:3], off
	global_load_dword v15, v18, s[12:13] offset:384
	v_mad_u64_u32 v[2:3], s[2:3], s4, v10, v[2:3]
	v_add_u32_e32 v3, s6, v3
	global_load_dword v21, v[2:3], off
	global_load_dword v22, v18, s[12:13] offset:768
	v_mad_u64_u32 v[2:3], s[2:3], s4, v10, v[2:3]
	v_add_u32_e32 v3, s6, v3
	global_load_dword v23, v[2:3], off
	global_load_dword v24, v18, s[12:13] offset:1152
	global_load_dword v27, v18, s[12:13] offset:1536
	;; [unrolled: 1-line block ×4, first 2 shown]
	v_or_b32_e32 v9, 0x300, v16
	v_lshlrev_b32_e32 v6, 2, v30
	v_lshl_add_u64 v[4:5], s[12:13], 0, v[18:19]
	global_load_dword v19, v6, s[12:13]
	v_mad_u64_u32 v[6:7], s[2:3], s4, v9, 0
	v_mov_b32_e32 v8, v7
	v_mad_u64_u32 v[8:9], s[2:3], s5, v9, v[8:9]
	s_mul_i32 s7, s5, 0x300
	v_mov_b32_e32 v7, v8
	v_mad_u64_u32 v[2:3], s[2:3], s4, v26, v[2:3]
	v_lshl_add_u64 v[6:7], v[6:7], 2, v[0:1]
	v_add_u32_e32 v3, s7, v3
	global_load_dword v31, v[6:7], off
	global_load_dword v32, v[2:3], off
	v_mad_u64_u32 v[2:3], s[2:3], s4, v10, v[2:3]
	v_add_u32_e32 v3, s6, v3
	global_load_dword v33, v[2:3], off
	v_mad_u64_u32 v[2:3], s[2:3], s4, v10, v[2:3]
	v_add_u32_e32 v3, s6, v3
	;; [unrolled: 3-line block ×3, first 2 shown]
	s_waitcnt vmcnt(16)
	v_lshrrev_b32_e32 v6, 16, v11
	s_waitcnt vmcnt(15)
	v_lshrrev_b32_e32 v35, 16, v12
	s_waitcnt vmcnt(14)
	v_mul_f16_sdwa v7, v13, v11 dst_sel:DWORD dst_unused:UNUSED_PAD src0_sel:WORD_1 src1_sel:DWORD
	v_mul_f16_sdwa v8, v13, v6 dst_sel:DWORD dst_unused:UNUSED_PAD src0_sel:WORD_1 src1_sel:DWORD
	v_fma_f16 v6, v13, v6, -v7
	v_fma_f16 v7, v13, v11, v8
	s_waitcnt vmcnt(13)
	v_lshrrev_b32_e32 v8, 16, v14
	s_waitcnt vmcnt(12)
	v_mul_f16_sdwa v9, v15, v14 dst_sel:DWORD dst_unused:UNUSED_PAD src0_sel:WORD_1 src1_sel:DWORD
	v_pack_b32_f16 v6, v7, v6
	v_mul_f16_sdwa v7, v15, v8 dst_sel:DWORD dst_unused:UNUSED_PAD src0_sel:WORD_1 src1_sel:DWORD
	v_fma_f16 v8, v15, v8, -v9
	v_fma_f16 v7, v15, v14, v7
	s_waitcnt vmcnt(11)
	v_lshrrev_b32_e32 v9, 16, v21
	s_waitcnt vmcnt(10)
	v_mul_f16_sdwa v11, v22, v21 dst_sel:DWORD dst_unused:UNUSED_PAD src0_sel:WORD_1 src1_sel:DWORD
	v_pack_b32_f16 v7, v7, v8
	v_mul_f16_sdwa v8, v22, v9 dst_sel:DWORD dst_unused:UNUSED_PAD src0_sel:WORD_1 src1_sel:DWORD
	v_fma_f16 v9, v22, v9, -v11
	ds_write2_b32 v18, v6, v7 offset1:96
	v_fma_f16 v6, v22, v21, v8
	s_waitcnt vmcnt(9)
	v_lshrrev_b32_e32 v7, 16, v23
	global_load_dword v11, v18, s[12:13] offset:2688
	s_waitcnt vmcnt(9)
	v_mul_f16_sdwa v8, v24, v23 dst_sel:DWORD dst_unused:UNUSED_PAD src0_sel:WORD_1 src1_sel:DWORD
	v_pack_b32_f16 v6, v6, v9
	v_mul_f16_sdwa v9, v24, v7 dst_sel:DWORD dst_unused:UNUSED_PAD src0_sel:WORD_1 src1_sel:DWORD
	v_fma_f16 v7, v24, v7, -v8
	v_fma_f16 v8, v24, v23, v9
	v_pack_b32_f16 v7, v8, v7
	ds_write2_b32 v25, v6, v7 offset0:64 offset1:160
	global_load_dword v13, v18, s[12:13] offset:3072
	global_load_dword v14, v[2:3], off
	v_mad_u64_u32 v[2:3], s[2:3], s4, v10, v[2:3]
	v_add_u32_e32 v3, s6, v3
	global_load_dword v15, v[2:3], off
	global_load_dword v21, v18, s[12:13] offset:3456
	global_load_dword v22, v18, s[12:13] offset:3840
	v_mad_u64_u32 v[2:3], s[2:3], s4, v10, v[2:3]
	s_movk_i32 s2, 0x1000
	s_nop 0
	v_add_co_u32_e64 v4, s[2:3], s2, v4
	v_or_b32_e32 v24, 0x480, v16
	v_add_u32_e32 v3, s6, v3
	v_addc_co_u32_e64 v5, s[2:3], 0, v5, s[2:3]
	v_mad_u64_u32 v[6:7], s[2:3], s4, v24, 0
	global_load_dword v23, v[2:3], off
	v_mov_b32_e32 v8, v7
	global_load_dword v25, v[4:5], off offset:128
	v_mad_u64_u32 v[8:9], s[2:3], s5, v24, v[8:9]
	v_mov_b32_e32 v7, v8
	v_lshl_add_u64 v[6:7], v[6:7], 2, v[0:1]
	global_load_dword v6, v[6:7], off
	v_lshlrev_b32_e32 v7, 2, v24
	global_load_dword v7, v7, s[12:13]
	v_mad_u64_u32 v[2:3], s[2:3], s4, v26, v[2:3]
	v_add_u32_e32 v3, s7, v3
	global_load_dword v9, v[2:3], off
	global_load_dword v24, v[4:5], off offset:896
	s_waitcnt vmcnt(19)
	v_mul_f16_sdwa v8, v27, v35 dst_sel:DWORD dst_unused:UNUSED_PAD src0_sel:WORD_1 src1_sel:DWORD
	v_mad_u64_u32 v[2:3], s[2:3], s4, v10, v[2:3]
	v_fma_f16 v8, v27, v12, v8
	v_mul_f16_sdwa v12, v27, v12 dst_sel:DWORD dst_unused:UNUSED_PAD src0_sel:WORD_1 src1_sel:DWORD
	v_add_u32_e32 v3, s6, v3
	v_fma_f16 v12, v27, v35, -v12
	global_load_dword v26, v[2:3], off
	global_load_dword v27, v[4:5], off offset:1280
	v_mad_u64_u32 v[2:3], s[2:3], s4, v10, v[2:3]
	v_add_u32_e32 v3, s6, v3
	global_load_dword v10, v[2:3], off
	global_load_dword v35, v[4:5], off offset:1664
	v_mad_u64_u32 v[2:3], s[2:3], s4, v30, 0
	v_mov_b32_e32 v4, v3
	v_mad_u64_u32 v[4:5], s[2:3], s5, v30, v[4:5]
	v_mov_b32_e32 v3, v4
	v_lshl_add_u64 v[0:1], v[2:3], 2, v[0:1]
	global_load_dword v0, v[0:1], off
	s_waitcnt vmcnt(19)
	v_lshrrev_b32_e32 v2, 16, v32
	v_mul_f16_sdwa v3, v28, v2 dst_sel:DWORD dst_unused:UNUSED_PAD src0_sel:WORD_1 src1_sel:DWORD
	v_mul_f16_sdwa v4, v28, v32 dst_sel:DWORD dst_unused:UNUSED_PAD src0_sel:WORD_1 src1_sel:DWORD
	v_fma_f16 v3, v28, v32, v3
	v_fma_f16 v2, v28, v2, -v4
	v_pack_b32_f16 v1, v8, v12
	v_pack_b32_f16 v2, v3, v2
	v_add_u32_e32 v3, 0x400, v18
	ds_write2_b32 v3, v1, v2 offset0:128 offset1:224
	s_waitcnt vmcnt(18)
	v_lshrrev_b32_e32 v1, 16, v33
	v_mul_f16_sdwa v2, v29, v1 dst_sel:DWORD dst_unused:UNUSED_PAD src0_sel:WORD_1 src1_sel:DWORD
	v_mul_f16_sdwa v3, v29, v33 dst_sel:DWORD dst_unused:UNUSED_PAD src0_sel:WORD_1 src1_sel:DWORD
	v_fma_f16 v2, v29, v33, v2
	v_fma_f16 v1, v29, v1, -v3
	v_pack_b32_f16 v1, v2, v1
	s_waitcnt vmcnt(17)
	v_lshrrev_b32_e32 v2, 16, v34
	s_waitcnt vmcnt(16)
	v_mul_f16_sdwa v3, v11, v2 dst_sel:DWORD dst_unused:UNUSED_PAD src0_sel:WORD_1 src1_sel:DWORD
	v_mul_f16_sdwa v4, v11, v34 dst_sel:DWORD dst_unused:UNUSED_PAD src0_sel:WORD_1 src1_sel:DWORD
	v_fma_f16 v3, v11, v34, v3
	v_fma_f16 v2, v11, v2, -v4
	v_pack_b32_f16 v2, v3, v2
	v_add_u32_e32 v3, 0x800, v18
	ds_write2_b32 v3, v1, v2 offset0:64 offset1:160
	v_lshrrev_b32_e32 v1, 16, v31
	s_waitcnt vmcnt(15)
	v_mul_f16_sdwa v2, v13, v1 dst_sel:DWORD dst_unused:UNUSED_PAD src0_sel:WORD_1 src1_sel:DWORD
	v_mul_f16_sdwa v3, v13, v31 dst_sel:DWORD dst_unused:UNUSED_PAD src0_sel:WORD_1 src1_sel:DWORD
	v_fma_f16 v2, v13, v31, v2
	v_fma_f16 v1, v13, v1, -v3
	v_pack_b32_f16 v1, v2, v1
	s_waitcnt vmcnt(14)
	v_lshrrev_b32_e32 v2, 16, v14
	s_waitcnt vmcnt(12)
	v_mul_f16_sdwa v3, v21, v2 dst_sel:DWORD dst_unused:UNUSED_PAD src0_sel:WORD_1 src1_sel:DWORD
	v_mul_f16_sdwa v4, v21, v14 dst_sel:DWORD dst_unused:UNUSED_PAD src0_sel:WORD_1 src1_sel:DWORD
	v_fma_f16 v3, v21, v14, v3
	v_fma_f16 v2, v21, v2, -v4
	v_pack_b32_f16 v2, v3, v2
	v_add_u32_e32 v3, 0xc00, v18
	ds_write2_b32 v3, v1, v2 offset1:96
	v_lshrrev_b32_e32 v1, 16, v15
	s_waitcnt vmcnt(11)
	v_mul_f16_sdwa v2, v22, v1 dst_sel:DWORD dst_unused:UNUSED_PAD src0_sel:WORD_1 src1_sel:DWORD
	v_mul_f16_sdwa v3, v22, v15 dst_sel:DWORD dst_unused:UNUSED_PAD src0_sel:WORD_1 src1_sel:DWORD
	v_fma_f16 v2, v22, v15, v2
	v_fma_f16 v1, v22, v1, -v3
	v_pack_b32_f16 v1, v2, v1
	s_waitcnt vmcnt(10)
	v_lshrrev_b32_e32 v2, 16, v23
	s_waitcnt vmcnt(9)
	v_mul_f16_sdwa v3, v25, v2 dst_sel:DWORD dst_unused:UNUSED_PAD src0_sel:WORD_1 src1_sel:DWORD
	v_mul_f16_sdwa v4, v25, v23 dst_sel:DWORD dst_unused:UNUSED_PAD src0_sel:WORD_1 src1_sel:DWORD
	v_fma_f16 v3, v25, v23, v3
	v_fma_f16 v2, v25, v2, -v4
	v_pack_b32_f16 v2, v3, v2
	v_add_u32_e32 v3, 0xe00, v18
	ds_write2_b32 v3, v1, v2 offset0:64 offset1:160
	s_waitcnt vmcnt(8)
	v_lshrrev_b32_e32 v1, 16, v6
	s_waitcnt vmcnt(7)
	v_mul_f16_sdwa v2, v7, v1 dst_sel:DWORD dst_unused:UNUSED_PAD src0_sel:WORD_1 src1_sel:DWORD
	v_mul_f16_sdwa v3, v7, v6 dst_sel:DWORD dst_unused:UNUSED_PAD src0_sel:WORD_1 src1_sel:DWORD
	v_fma_f16 v2, v7, v6, v2
	v_fma_f16 v1, v7, v1, -v3
	v_pack_b32_f16 v1, v2, v1
	s_waitcnt vmcnt(6)
	v_lshrrev_b32_e32 v2, 16, v9
	s_waitcnt vmcnt(5)
	v_mul_f16_sdwa v3, v24, v2 dst_sel:DWORD dst_unused:UNUSED_PAD src0_sel:WORD_1 src1_sel:DWORD
	v_mul_f16_sdwa v4, v24, v9 dst_sel:DWORD dst_unused:UNUSED_PAD src0_sel:WORD_1 src1_sel:DWORD
	v_fma_f16 v3, v24, v9, v3
	v_fma_f16 v2, v24, v2, -v4
	v_pack_b32_f16 v2, v3, v2
	v_add_u32_e32 v3, 0x1000, v18
	ds_write2_b32 v3, v1, v2 offset0:128 offset1:224
	s_waitcnt vmcnt(4)
	;; [unrolled: 18-line block ×3, first 2 shown]
	v_lshrrev_b32_e32 v1, 16, v0
	v_mul_f16_sdwa v2, v19, v1 dst_sel:DWORD dst_unused:UNUSED_PAD src0_sel:WORD_1 src1_sel:DWORD
	v_fma_f16 v2, v19, v0, v2
	v_mul_f16_sdwa v0, v19, v0 dst_sel:DWORD dst_unused:UNUSED_PAD src0_sel:WORD_1 src1_sel:DWORD
	v_fma_f16 v0, v19, v1, -v0
	v_pack_b32_f16 v0, v2, v0
	ds_write_b32 v18, v0 offset:6144
.LBB0_3:
	s_or_b64 exec, exec, s[8:9]
	s_load_dwordx2 s[2:3], s[0:1], 0x20
	s_load_dwordx2 s[4:5], s[0:1], 0x8
	v_mov_b32_e32 v0, 0
	s_waitcnt lgkmcnt(0)
	s_barrier
	s_waitcnt lgkmcnt(0)
                                        ; implicit-def: $vgpr37
                                        ; implicit-def: $vgpr31
                                        ; implicit-def: $vgpr15
                                        ; implicit-def: $vgpr32
                                        ; implicit-def: $vgpr34
                                        ; implicit-def: $vgpr13
                                        ; implicit-def: $vgpr35
                                        ; implicit-def: $vgpr36
                                        ; implicit-def: $vgpr11
                                        ; implicit-def: $vgpr33
                                        ; implicit-def: $vgpr26
                                        ; implicit-def: $vgpr9
                                        ; implicit-def: $vgpr27
                                        ; implicit-def: $vgpr28
                                        ; implicit-def: $vgpr7
                                        ; implicit-def: $vgpr29
                                        ; implicit-def: $vgpr30
                                        ; implicit-def: $vgpr5
                                        ; implicit-def: $vgpr21
                                        ; implicit-def: $vgpr22
                                        ; implicit-def: $vgpr3
                                        ; implicit-def: $vgpr23
                                        ; implicit-def: $vgpr24
                                        ; implicit-def: $vgpr25
	s_and_saveexec_b64 s[0:1], vcc
	s_cbranch_execz .LBB0_5
; %bb.4:
	v_add_u32_e32 v2, 0x200, v18
	v_add_u32_e32 v4, 0x400, v18
	;; [unrolled: 1-line block ×7, first 2 shown]
	ds_read2_b32 v[0:1], v18 offset1:96
	ds_read2_b32 v[2:3], v2 offset0:64 offset1:160
	ds_read2_b32 v[4:5], v4 offset0:128 offset1:224
	;; [unrolled: 1-line block ×3, first 2 shown]
	ds_read2_b32 v[8:9], v8 offset1:96
	ds_read2_b32 v[10:11], v10 offset0:64 offset1:160
	ds_read2_b32 v[12:13], v12 offset0:128 offset1:224
	;; [unrolled: 1-line block ×3, first 2 shown]
	ds_read_b32 v37, v18 offset:6144
	s_waitcnt lgkmcnt(8)
	v_lshrrev_b32_e32 v25, 16, v1
	s_waitcnt lgkmcnt(7)
	v_lshrrev_b32_e32 v24, 16, v2
	v_lshrrev_b32_e32 v23, 16, v3
	s_waitcnt lgkmcnt(6)
	v_lshrrev_b32_e32 v22, 16, v4
	;; [unrolled: 3-line block ×8, first 2 shown]
.LBB0_5:
	s_or_b64 exec, exec, s[0:1]
	v_sub_f16_e32 v101, v25, v31
	v_add_f16_e32 v41, v37, v1
	v_sub_f16_e32 v58, v1, v37
	s_movk_i32 s6, 0x3b76
	v_mul_f16_e32 v39, 0xb5c8, v101
	v_sub_f16_e32 v102, v24, v32
	v_add_f16_e32 v43, v31, v25
	v_mul_f16_e32 v46, 0xb5c8, v58
	v_fma_f16 v19, v41, s6, v39
	v_add_f16_e32 v44, v15, v2
	v_sub_f16_e32 v62, v2, v15
	s_movk_i32 s7, 0x39e9
	v_mul_f16_e32 v40, 0xb964, v102
	v_add_f16_e32 v19, v19, v0
	v_fma_f16 v38, v43, s6, -v46
	v_add_f16_e32 v47, v32, v24
	v_mul_f16_e32 v50, 0xb964, v62
	v_fma_f16 v42, v44, s7, v40
	v_add_f16_sdwa v38, v38, v0 dst_sel:DWORD dst_unused:UNUSED_PAD src0_sel:DWORD src1_sel:WORD_1
	v_add_f16_e32 v19, v42, v19
	v_fma_f16 v42, v47, s7, -v50
	v_sub_f16_e32 v103, v23, v34
	v_add_f16_e32 v38, v42, v38
	v_add_f16_e32 v48, v14, v3
	v_sub_f16_e32 v65, v3, v14
	s_movk_i32 s8, 0x3722
	v_mul_f16_e32 v42, 0xbb29, v103
	v_add_f16_e32 v51, v34, v23
	v_mul_f16_e32 v53, 0xbb29, v65
	v_fma_f16 v45, v48, s8, v42
	v_add_f16_e32 v19, v45, v19
	v_fma_f16 v45, v51, s8, -v53
	v_sub_f16_e32 v104, v22, v35
	v_add_f16_e32 v38, v45, v38
	v_add_f16_e32 v54, v13, v4
	v_sub_f16_e32 v68, v4, v13
	s_movk_i32 s9, 0x2de8
	v_mul_f16_e32 v45, 0xbbf7, v104
	v_add_f16_e32 v55, v35, v22
	v_mul_f16_e32 v52, 0xbbf7, v68
	v_fma_f16 v49, v54, s9, v45
	v_add_f16_e32 v19, v49, v19
	v_fma_f16 v49, v55, s9, -v52
	v_sub_f16_e32 v105, v21, v36
	v_add_f16_e32 v38, v49, v38
	v_add_f16_e32 v57, v12, v5
	s_mov_b32 s10, 0xb461
	v_mul_f16_e32 v49, 0xbbb2, v105
	v_sub_f16_e32 v75, v5, v12
	v_fma_f16 v56, v57, s10, v49
	v_add_f16_e32 v60, v36, v21
	v_mul_f16_e32 v59, 0xbbb2, v75
	v_add_f16_e32 v19, v56, v19
	v_fma_f16 v56, v60, s10, -v59
	v_sub_f16_e32 v106, v30, v33
	v_add_f16_e32 v38, v56, v38
	s_mov_b32 s11, 0xb8d2
	v_add_f16_e32 v64, v11, v6
	v_mul_f16_e32 v56, 0xba62, v106
	v_sub_f16_e32 v77, v6, v11
	v_fma_f16 v61, v64, s11, v56
	v_add_f16_e32 v66, v33, v30
	v_mul_f16_e32 v63, 0xba62, v77
	v_add_f16_e32 v19, v61, v19
	v_fma_f16 v61, v66, s11, -v63
	v_sub_f16_e32 v107, v29, v26
	v_add_f16_e32 v38, v61, v38
	s_mov_b32 s16, 0xbacd
	v_add_f16_e32 v70, v10, v7
	;; [unrolled: 11-line block ×3, first 2 shown]
	v_mul_f16_e32 v67, 0xb1e1, v108
	v_sub_f16_e32 v81, v8, v9
	v_fma_f16 v71, v74, s17, v67
	v_add_f16_e32 v76, v27, v28
	v_mul_f16_e32 v73, 0xb1e1, v81
	v_add_f16_e32 v19, v71, v19
	v_fma_f16 v71, v76, s17, -v73
	v_add_f16_e32 v38, v71, v38
	s_mov_b32 s22, 0xb5c8
	s_mov_b32 s20, 0xb964
	;; [unrolled: 1-line block ×8, first 2 shown]
	s_barrier
	s_and_saveexec_b64 s[0:1], vcc
	s_cbranch_execz .LBB0_7
; %bb.6:
	v_mul_f16_e32 v84, 0x39e9, v43
	s_movk_i32 s25, 0x3964
	v_fma_f16 v71, v58, s25, v84
	v_mul_f16_e32 v85, 0x2de8, v47
	s_movk_i32 s33, 0x3bf7
	v_add_f16_sdwa v71, v71, v0 dst_sel:DWORD dst_unused:UNUSED_PAD src0_sel:DWORD src1_sel:WORD_1
	v_fma_f16 v78, v62, s33, v85
	v_mul_f16_e32 v86, 0xb8d2, v51
	s_movk_i32 s29, 0x3a62
	v_add_f16_e32 v71, v78, v71
	v_fma_f16 v78, v65, s29, v86
	v_mul_f16_e32 v87, 0xbbdd, v55
	s_movk_i32 s26, 0x31e1
	v_add_f16_e32 v71, v78, v71
	v_fma_f16 v78, v68, s26, v87
	v_mul_f16_e32 v88, 0xbacd, v60
	v_add_f16_e32 v71, v78, v71
	v_fma_f16 v78, v75, s23, v88
	v_mul_f16_e32 v89, 0xb461, v66
	v_add_f16_e32 v71, v78, v71
	v_fma_f16 v78, v77, s30, v89
	v_mul_f16_e32 v90, 0x3722, v72
	v_add_f16_e32 v71, v78, v71
	v_fma_f16 v78, v79, s24, v90
	v_mul_f16_e32 v91, 0x3b76, v76
	v_add_f16_e32 v71, v78, v71
	v_fma_f16 v78, v81, s22, v91
	v_mul_f16_e32 v92, 0xb964, v101
	v_add_f16_e32 v71, v78, v71
	v_fma_f16 v78, v41, s7, v92
	v_mul_f16_e32 v93, 0xbbf7, v102
	v_add_f16_e32 v78, v78, v0
	v_fma_f16 v80, v44, s9, v93
	v_mul_f16_e32 v94, 0xba62, v103
	v_add_f16_e32 v78, v80, v78
	v_fma_f16 v80, v48, s11, v94
	v_mul_f16_e32 v95, 0xb1e1, v104
	v_add_f16_e32 v78, v80, v78
	v_fma_f16 v80, v54, s17, v95
	v_mul_f16_e32 v96, 0x3836, v105
	v_add_f16_e32 v78, v80, v78
	v_fma_f16 v80, v57, s16, v96
	v_mul_f16_e32 v97, 0x3bb2, v106
	v_add_f16_e32 v78, v80, v78
	v_fma_f16 v80, v64, s10, v97
	v_mul_f16_e32 v98, 0x3b29, v107
	v_add_f16_e32 v78, v80, v78
	v_fma_f16 v80, v70, s8, v98
	v_mul_f16_e32 v100, 0x35c8, v108
	v_add_f16_e32 v78, v80, v78
	v_fma_f16 v80, v74, s6, v100
	s_movk_i32 s27, 0x3b29
	v_mul_f16_e32 v109, 0x3722, v43
	v_add_f16_e32 v78, v80, v78
	v_fma_f16 v80, v58, s27, v109
	v_mul_f16_e32 v110, 0xb8d2, v47
	v_add_f16_sdwa v80, v80, v0 dst_sel:DWORD dst_unused:UNUSED_PAD src0_sel:DWORD src1_sel:WORD_1
	v_fma_f16 v82, v62, s29, v110
	v_mul_f16_e32 v111, 0xbbdd, v51
	v_add_f16_e32 v80, v82, v80
	v_fma_f16 v82, v65, s19, v111
	v_mul_f16_e32 v112, 0xb461, v55
	v_add_f16_e32 v80, v82, v80
	;; [unrolled: 3-line block ×3, first 2 shown]
	v_fma_f16 v82, v75, s20, v113
	s_movk_i32 s28, 0x35c8
	v_mul_f16_e32 v114, 0x3b76, v66
	v_add_f16_e32 v80, v82, v80
	v_fma_f16 v82, v77, s28, v114
	v_mul_f16_e32 v115, 0x2de8, v72
	v_add_f16_e32 v80, v82, v80
	v_fma_f16 v82, v79, s33, v115
	s_movk_i32 s31, 0x3836
	v_mul_f16_e32 v116, 0xbacd, v76
	v_add_f16_e32 v80, v82, v80
	v_fma_f16 v82, v81, s31, v116
	v_mul_f16_e32 v117, 0xbb29, v101
	v_add_f16_e32 v80, v82, v80
	v_fma_f16 v82, v41, s8, v117
	;; [unrolled: 3-line block ×10, first 2 shown]
	v_mul_f16_e32 v126, 0xbbdd, v47
	v_add_f16_sdwa v83, v83, v0 dst_sel:DWORD dst_unused:UNUSED_PAD src0_sel:DWORD src1_sel:WORD_1
	v_fma_f16 v99, v62, s26, v126
	v_mul_f16_e32 v127, 0xb461, v51
	v_add_f16_e32 v83, v99, v83
	v_fma_f16 v99, v65, s30, v127
	v_mul_f16_e32 v128, 0x3b76, v55
	v_add_f16_e32 v83, v99, v83
	;; [unrolled: 3-line block ×8, first 2 shown]
	v_fma_f16 v135, v44, s17, v134
	v_add_f16_e32 v99, v135, v99
	v_mul_f16_e32 v135, 0x3bb2, v103
	v_fma_f16 v136, v48, s10, v135
	v_add_f16_e32 v99, v136, v99
	v_mul_f16_e32 v136, 0x35c8, v104
	;; [unrolled: 3-line block ×6, first 2 shown]
	v_fma_f16 v141, v74, s7, v140
	v_add_f16_e32 v99, v141, v99
	s_movk_i32 s34, 0x3bb2
	v_mul_f16_e32 v141, 0xb461, v43
	v_fma_f16 v142, v58, s34, v141
	v_mul_f16_e32 v143, 0xbacd, v47
	v_add_f16_sdwa v142, v142, v0 dst_sel:DWORD dst_unused:UNUSED_PAD src0_sel:DWORD src1_sel:WORD_1
	v_fma_f16 v144, v62, s23, v143
	v_add_f16_e32 v142, v144, v142
	v_mul_f16_e32 v144, 0x39e9, v51
	v_fma_f16 v145, v65, s20, v144
	v_add_f16_e32 v142, v145, v142
	v_mul_f16_e32 v145, 0x3722, v55
	v_fma_f16 v146, v68, s27, v145
	v_add_f16_e32 v142, v146, v142
	v_mul_f16_e32 v146, 0xbbdd, v60
	v_fma_f16 v147, v75, s26, v146
	v_add_f16_e32 v142, v147, v142
	v_mul_f16_e32 v147, 0x2de8, v66
	v_fma_f16 v148, v77, s21, v147
	v_add_f16_e32 v142, v148, v142
	v_mul_f16_e32 v148, 0x3b76, v72
	v_fma_f16 v149, v79, s28, v148
	v_add_f16_e32 v142, v149, v142
	v_mul_f16_e32 v149, 0xb8d2, v76
	v_fma_f16 v150, v81, s29, v149
	v_add_f16_e32 v142, v150, v142
	v_mul_f16_e32 v150, 0xbbb2, v101
	v_fma_f16 v151, v41, s10, v150
	v_mul_f16_e32 v152, 0x3836, v102
	v_add_f16_e32 v151, v151, v0
	v_fma_f16 v153, v44, s16, v152
	v_add_f16_e32 v151, v153, v151
	v_mul_f16_e32 v153, 0x3964, v103
	v_fma_f16 v154, v48, s7, v153
	v_add_f16_e32 v151, v154, v151
	v_mul_f16_e32 v154, 0xbb29, v104
	v_fma_f16 v155, v54, s8, v154
	v_add_f16_e32 v151, v155, v151
	v_mul_f16_e32 v155, 0xb1e1, v105
	v_fma_f16 v156, v57, s17, v155
	v_add_f16_e32 v151, v156, v151
	v_mul_f16_e32 v156, 0x3bf7, v106
	v_fma_f16 v157, v64, s9, v156
	v_add_f16_e32 v151, v157, v151
	v_mul_f16_e32 v157, 0xb5c8, v107
	v_fma_f16 v158, v70, s6, v157
	v_add_f16_e32 v151, v158, v151
	v_mul_f16_e32 v158, 0xba62, v108
	v_fma_f16 v159, v74, s11, v158
	v_add_f16_e32 v151, v159, v151
	v_mul_f16_e32 v159, 0xb8d2, v43
	v_fma_f16 v160, v58, s29, v159
	v_mul_f16_e32 v161, 0xb461, v47
	v_add_f16_sdwa v160, v160, v0 dst_sel:DWORD dst_unused:UNUSED_PAD src0_sel:DWORD src1_sel:WORD_1
	v_fma_f16 v162, v62, s30, v161
	v_add_f16_e32 v160, v162, v160
	v_mul_f16_e32 v162, 0x3b76, v51
	v_fma_f16 v163, v65, s28, v162
	v_add_f16_e32 v160, v163, v160
	v_mul_f16_e32 v163, 0xbacd, v55
	v_fma_f16 v164, v68, s31, v163
	v_add_f16_e32 v160, v164, v160
	v_mul_f16_e32 v164, 0x2de8, v60
	v_fma_f16 v165, v75, s21, v164
	v_add_f16_e32 v160, v165, v160
	v_mul_f16_e32 v165, 0x39e9, v66
	v_fma_f16 v166, v77, s25, v165
	v_add_f16_e32 v160, v166, v160
	v_mul_f16_e32 v166, 0xbbdd, v72
	v_fma_f16 v167, v79, s26, v166
	v_add_f16_e32 v160, v167, v160
	v_mul_f16_e32 v167, 0x3722, v76
	v_fma_f16 v168, v81, s24, v167
	v_add_f16_e32 v160, v168, v160
	v_mul_f16_e32 v168, 0xba62, v101
	v_fma_f16 v169, v41, s11, v168
	v_mul_f16_e32 v170, 0x3bb2, v102
	v_add_f16_e32 v169, v169, v0
	v_fma_f16 v171, v44, s10, v170
	v_add_f16_e32 v169, v171, v169
	v_mul_f16_e32 v171, 0xb5c8, v103
	v_fma_f16 v172, v48, s6, v171
	v_add_f16_e32 v169, v172, v169
	v_mul_f16_e32 v172, 0xb836, v104
	v_fma_f16 v173, v54, s16, v172
	v_add_f16_e32 v169, v173, v169
	v_mul_f16_e32 v173, 0x3bf7, v105
	v_fma_f16 v174, v57, s9, v173
	v_add_f16_e32 v169, v174, v169
	v_mul_f16_e32 v174, 0xb964, v106
	v_fma_f16 v175, v64, s7, v174
	v_add_f16_e32 v169, v175, v169
	v_mul_f16_e32 v175, 0xb1e1, v107
	v_fma_f16 v176, v70, s17, v175
	v_add_f16_e32 v169, v176, v169
	v_mul_f16_e32 v176, 0x3b29, v108
	v_fma_f16 v177, v74, s8, v176
	v_add_f16_e32 v169, v177, v169
	;; [unrolled: 48-line block ×3, first 2 shown]
	v_mul_f16_e32 v195, 0xbbdd, v43
	v_fma_f16 v196, v58, s26, v195
	v_mul_f16_e32 v197, 0x3b76, v47
	v_add_f16_sdwa v196, v196, v0 dst_sel:DWORD dst_unused:UNUSED_PAD src0_sel:DWORD src1_sel:WORD_1
	v_fma_f16 v198, v62, s22, v197
	v_add_f16_e32 v196, v198, v196
	v_mul_f16_e32 v198, 0xbacd, v51
	v_fma_f16 v199, v65, s31, v198
	v_add_f16_e32 v196, v199, v196
	v_mul_f16_e32 v199, 0x39e9, v55
	v_fma_f16 v200, v68, s20, v199
	v_add_f16_e32 v196, v200, v196
	v_mul_f16_e32 v200, 0xb8d2, v60
	v_fma_f16 v201, v75, s29, v200
	v_add_f16_e32 v196, v201, v196
	v_mul_f16_e32 v201, 0x3722, v66
	v_fma_f16 v202, v77, s24, v201
	v_add_f16_e32 v196, v202, v196
	v_mul_f16_e32 v202, 0xb461, v72
	v_fma_f16 v203, v79, s34, v202
	v_add_f16_e32 v196, v203, v196
	v_mul_f16_e32 v203, 0x2de8, v76
	v_fma_f16 v204, v81, s21, v203
	v_mul_f16_e32 v101, 0xb1e1, v101
	v_add_f16_e32 v196, v204, v196
	v_fma_f16 v204, v41, s17, v101
	v_mul_f16_e32 v102, 0x35c8, v102
	v_fma_f16 v101, v41, s17, -v101
	v_fma_f16 v205, v44, s6, v102
	v_mul_f16_e32 v103, 0xb836, v103
	v_add_f16_e32 v101, v101, v0
	v_fma_f16 v102, v44, s6, -v102
	v_mul_f16_e32 v104, 0x3964, v104
	v_add_f16_e32 v101, v102, v101
	v_fma_f16 v102, v48, s16, -v103
	;; [unrolled: 3-line block ×6, first 2 shown]
	v_add_f16_e32 v101, v102, v101
	v_fma_f16 v102, v74, s9, -v108
	v_add_f16_e32 v204, v204, v0
	v_add_f16_e32 v101, v102, v101
	v_fma_f16 v102, v58, s23, v177
	v_add_f16_e32 v204, v205, v204
	v_fma_f16 v205, v48, s16, v103
	v_add_f16_sdwa v102, v102, v0 dst_sel:DWORD dst_unused:UNUSED_PAD src0_sel:DWORD src1_sel:WORD_1
	v_fma_f16 v103, v62, s27, v179
	v_add_f16_e32 v102, v103, v102
	v_fma_f16 v103, v65, s21, v180
	v_add_f16_e32 v102, v103, v102
	v_fma_f16 v103, v68, s29, v181
	v_add_f16_e32 v102, v103, v102
	v_fma_f16 v103, v75, s22, v182
	v_add_f16_e32 v102, v103, v102
	v_fma_f16 v103, v77, s19, v183
	v_add_f16_e32 v102, v103, v102
	v_fma_f16 v103, v79, s25, v184
	v_add_f16_e32 v102, v103, v102
	v_fma_f16 v103, v81, s30, v185
	v_add_f16_e32 v102, v103, v102
	v_fma_f16 v103, v41, s16, -v186
	v_add_f16_e32 v204, v205, v204
	v_fma_f16 v205, v54, s7, v104
	v_add_f16_e32 v103, v103, v0
	v_fma_f16 v104, v44, s8, -v188
	v_add_f16_e32 v103, v104, v103
	v_fma_f16 v104, v48, s9, -v189
	v_add_f16_e32 v103, v104, v103
	v_fma_f16 v104, v54, s11, -v190
	v_add_f16_e32 v103, v104, v103
	v_fma_f16 v104, v57, s6, -v191
	v_add_f16_e32 v103, v104, v103
	v_fma_f16 v104, v64, s17, -v192
	v_add_f16_e32 v103, v104, v103
	v_fma_f16 v104, v70, s7, -v193
	v_add_f16_e32 v103, v104, v103
	v_fma_f16 v104, v74, s10, -v194
	v_add_f16_e32 v103, v104, v103
	v_fma_f16 v104, v58, s18, v159
	v_add_f16_e32 v204, v205, v204
	v_fma_f16 v205, v57, s11, v105
	v_add_f16_sdwa v104, v104, v0 dst_sel:DWORD dst_unused:UNUSED_PAD src0_sel:DWORD src1_sel:WORD_1
	v_fma_f16 v105, v62, s34, v161
	v_add_f16_e32 v104, v105, v104
	v_fma_f16 v105, v65, s22, v162
	v_add_f16_e32 v104, v105, v104
	v_fma_f16 v105, v68, s23, v163
	v_add_f16_e32 v104, v105, v104
	v_fma_f16 v105, v75, s33, v164
	v_add_f16_e32 v104, v105, v104
	v_fma_f16 v105, v77, s20, v165
	v_add_f16_e32 v104, v105, v104
	v_fma_f16 v105, v79, s19, v166
	v_add_f16_e32 v104, v105, v104
	v_fma_f16 v105, v81, s27, v167
	v_add_f16_e32 v104, v105, v104
	v_fma_f16 v105, v41, s11, -v168
	v_add_f16_e32 v204, v205, v204
	v_fma_f16 v205, v64, s8, v106
	v_add_f16_e32 v105, v105, v0
	v_fma_f16 v106, v44, s10, -v170
	v_add_f16_e32 v105, v106, v105
	v_fma_f16 v106, v48, s6, -v171
	v_add_f16_e32 v105, v106, v105
	v_fma_f16 v106, v54, s16, -v172
	v_add_f16_e32 v105, v106, v105
	v_fma_f16 v106, v57, s9, -v173
	v_add_f16_e32 v105, v106, v105
	v_fma_f16 v106, v64, s7, -v174
	v_add_f16_e32 v105, v106, v105
	v_fma_f16 v106, v70, s17, -v175
	v_add_f16_e32 v105, v106, v105
	v_fma_f16 v106, v74, s8, -v176
	;; [unrolled: 36-line block ×3, first 2 shown]
	v_fma_f16 v195, v58, s19, v195
	v_add_f16_e32 v107, v108, v107
	v_fma_f16 v108, v58, s21, v125
	v_fma_f16 v109, v58, s24, v109
	v_fma_f16 v58, v58, s20, v84
	v_fma_f16 v197, v62, s28, v197
	v_add_f16_sdwa v108, v108, v0 dst_sel:DWORD dst_unused:UNUSED_PAD src0_sel:DWORD src1_sel:WORD_1
	v_fma_f16 v125, v62, s19, v126
	v_add_f16_sdwa v109, v109, v0 dst_sel:DWORD dst_unused:UNUSED_PAD src0_sel:DWORD src1_sel:WORD_1
	v_fma_f16 v110, v62, s18, v110
	v_fma_f16 v62, v62, s21, v85
	v_add_f16_sdwa v58, v58, v0 dst_sel:DWORD dst_unused:UNUSED_PAD src0_sel:DWORD src1_sel:WORD_1
	v_add_f16_e32 v108, v125, v108
	v_fma_f16 v125, v65, s34, v127
	v_add_f16_e32 v109, v110, v109
	v_fma_f16 v110, v65, s26, v111
	;; [unrolled: 2-line block ×18, first 2 shown]
	v_add_f16_e32 v108, v125, v108
	v_fma_f16 v125, v41, s9, -v133
	v_add_f16_e32 v109, v110, v109
	v_fma_f16 v110, v41, s8, -v117
	v_add_f16_e32 v58, v62, v58
	v_fma_f16 v62, v41, s7, -v92
	v_mul_f16_e32 v43, 0x3b76, v43
	v_mul_f16_e32 v41, 0x3b76, v41
	v_add_f16_e32 v43, v46, v43
	v_sub_f16_e32 v39, v41, v39
	v_add_f16_sdwa v195, v195, v0 dst_sel:DWORD dst_unused:UNUSED_PAD src0_sel:DWORD src1_sel:WORD_1
	v_add_f16_e32 v125, v125, v0
	v_add_f16_e32 v110, v110, v0
	v_add_f16_e32 v62, v62, v0
	v_add_f16_sdwa v43, v43, v0 dst_sel:DWORD dst_unused:UNUSED_PAD src0_sel:DWORD src1_sel:WORD_1
	v_add_f16_e32 v39, v39, v0
	v_add_f16_e32 v1, v1, v0
	v_add_f16_sdwa v0, v25, v0 dst_sel:DWORD dst_unused:UNUSED_PAD src0_sel:DWORD src1_sel:WORD_1
	v_add_f16_e32 v1, v2, v1
	v_add_f16_e32 v0, v24, v0
	;; [unrolled: 1-line block ×6, first 2 shown]
	v_mul_f16_e32 v46, 0x39e9, v47
	v_add_f16_e32 v1, v5, v1
	v_add_f16_e32 v0, v21, v0
	;; [unrolled: 1-line block ×6, first 2 shown]
	v_mul_f16_e32 v46, 0x3722, v51
	v_add_f16_e32 v1, v7, v1
	v_add_f16_e32 v0, v29, v0
	;; [unrolled: 1-line block ×3, first 2 shown]
	v_fma_f16 v197, v65, s23, v198
	v_fma_f16 v126, v44, s17, -v134
	v_fma_f16 v111, v44, s11, -v118
	;; [unrolled: 1-line block ×3, first 2 shown]
	v_add_f16_e32 v46, v53, v46
	v_mul_f16_e32 v44, 0x39e9, v44
	v_add_f16_e32 v1, v8, v1
	v_add_f16_e32 v0, v28, v0
	v_add_f16_e32 v43, v46, v43
	v_mul_f16_e32 v46, 0x3722, v48
	v_sub_f16_e32 v40, v44, v40
	v_add_f16_e32 v1, v9, v1
	v_add_f16_e32 v0, v27, v0
	;; [unrolled: 1-line block ×3, first 2 shown]
	v_fma_f16 v126, v48, s10, -v135
	v_add_f16_e32 v110, v111, v110
	v_fma_f16 v111, v48, s17, -v119
	v_add_f16_e32 v62, v65, v62
	v_fma_f16 v65, v48, s11, -v94
	v_mul_f16_e32 v47, 0x2de8, v54
	v_mul_f16_e32 v48, 0x2de8, v55
	v_add_f16_e32 v39, v40, v39
	v_sub_f16_e32 v40, v46, v42
	v_add_f16_e32 v1, v10, v1
	v_add_f16_e32 v0, v26, v0
	v_mul_f16_e32 v50, 0xb461, v57
	v_mul_f16_e32 v51, 0xb461, v60
	v_add_f16_e32 v48, v52, v48
	v_add_f16_e32 v39, v40, v39
	v_sub_f16_e32 v40, v47, v45
	v_add_f16_e32 v1, v11, v1
	v_add_f16_e32 v0, v33, v0
	v_add_f16_e32 v125, v126, v125
	v_fma_f16 v126, v54, s6, -v136
	v_add_f16_e32 v110, v111, v110
	v_fma_f16 v111, v54, s10, -v120
	v_add_f16_e32 v62, v65, v62
	v_fma_f16 v65, v54, s17, -v95
	v_mul_f16_e32 v53, 0xb8d2, v64
	v_mul_f16_e32 v54, 0xb8d2, v66
	v_add_f16_e32 v43, v48, v43
	v_add_f16_e32 v48, v59, v51
	v_add_f16_e32 v39, v40, v39
	v_sub_f16_e32 v40, v50, v49
	v_add_f16_e32 v1, v12, v1
	v_add_f16_e32 v0, v36, v0
	v_add_f16_e32 v125, v126, v125
	v_fma_f16 v126, v57, s8, -v137
	v_add_f16_e32 v110, v111, v110
	v_fma_f16 v111, v57, s7, -v121
	v_add_f16_e32 v62, v65, v62
	v_fma_f16 v65, v57, s16, -v96
	v_mul_f16_e32 v55, 0xbacd, v70
	v_mul_f16_e32 v57, 0xbacd, v72
	v_add_f16_e32 v43, v48, v43
	;; [unrolled: 14-line block ×3, first 2 shown]
	v_add_f16_e32 v48, v69, v57
	v_add_f16_e32 v39, v40, v39
	v_sub_f16_e32 v40, v55, v61
	v_add_f16_e32 v1, v14, v1
	v_add_f16_e32 v0, v34, v0
	;; [unrolled: 1-line block ×3, first 2 shown]
	v_fma_f16 v197, v68, s25, v199
	v_add_f16_e32 v110, v111, v110
	v_fma_f16 v111, v70, s9, -v123
	v_add_f16_e32 v62, v65, v62
	v_fma_f16 v65, v70, s8, -v98
	v_add_f16_e32 v43, v48, v43
	v_add_f16_e32 v48, v73, v64
	;; [unrolled: 1-line block ×3, first 2 shown]
	v_sub_f16_e32 v40, v60, v67
	v_add_f16_e32 v1, v15, v1
	v_add_f16_e32 v0, v32, v0
	;; [unrolled: 1-line block ×3, first 2 shown]
	v_fma_f16 v197, v75, s18, v200
	v_add_f16_e32 v125, v126, v125
	v_fma_f16 v126, v70, s11, -v139
	v_add_f16_e32 v110, v111, v110
	v_fma_f16 v111, v74, s16, -v124
	;; [unrolled: 2-line block ×3, first 2 shown]
	v_add_f16_e32 v43, v48, v43
	v_add_f16_e32 v39, v40, v39
	;; [unrolled: 1-line block ×4, first 2 shown]
	v_mul_lo_u16_e32 v2, 17, v16
	v_add_f16_e32 v195, v197, v195
	v_fma_f16 v197, v77, s27, v201
	v_add_f16_e32 v125, v126, v125
	v_fma_f16 v126, v74, s7, -v140
	v_add_f16_e32 v110, v111, v110
	v_add_f16_e32 v62, v65, v62
	v_lshlrev_b32_e32 v2, 2, v2
	v_pack_b32_f16 v3, v39, v43
	v_pack_b32_f16 v0, v1, v0
	v_add_f16_e32 v195, v197, v195
	v_fma_f16 v197, v79, s30, v202
	v_add_f16_e32 v125, v126, v125
	ds_write2_b32 v2, v0, v3 offset1:1
	v_pack_b32_f16 v0, v110, v109
	v_pack_b32_f16 v1, v62, v58
	v_add_f16_e32 v195, v197, v195
	v_fma_f16 v197, v81, s33, v203
	ds_write2_b32 v2, v1, v0 offset0:2 offset1:3
	v_pack_b32_f16 v0, v107, v106
	v_pack_b32_f16 v1, v125, v108
	v_add_f16_e32 v204, v205, v204
	v_add_f16_e32 v195, v197, v195
	ds_write2_b32 v2, v1, v0 offset0:4 offset1:5
	v_pack_b32_f16 v0, v103, v102
	v_pack_b32_f16 v1, v105, v104
	ds_write2_b32 v2, v1, v0 offset0:6 offset1:7
	v_pack_b32_f16 v0, v204, v196
	v_pack_b32_f16 v1, v101, v195
	ds_write2_b32 v2, v1, v0 offset0:8 offset1:9
	v_pack_b32_f16 v0, v169, v160
	v_pack_b32_f16 v1, v187, v178
	ds_write2_b32 v2, v1, v0 offset0:10 offset1:11
	v_pack_b32_f16 v0, v99, v83
	v_pack_b32_f16 v1, v151, v142
	ds_write2_b32 v2, v1, v0 offset0:12 offset1:13
	v_pack_b32_f16 v0, v78, v71
	v_pack_b32_f16 v1, v82, v80
	s_mov_b32 s6, 0x5040100
	ds_write2_b32 v2, v1, v0 offset0:14 offset1:15
	v_perm_b32 v0, v38, v19, s6
	ds_write_b32 v2, v0 offset:64
.LBB0_7:
	s_or_b64 exec, exec, s[0:1]
	s_mov_b64 s[0:1], 0xcc
	v_lshl_add_u64 v[4:5], v[16:17], 0, s[0:1]
	s_mov_b64 s[0:1], 0x132
	v_lshl_add_u64 v[2:3], v[16:17], 0, s[0:1]
	;; [unrolled: 2-line block ×5, first 2 shown]
	s_movk_i32 s0, 0xf1
	v_mul_lo_u16_sdwa v7, v16, s0 dst_sel:DWORD dst_unused:UNUSED_PAD src0_sel:BYTE_0 src1_sel:DWORD
	v_lshrrev_b16_e32 v9, 12, v7
	v_add_u16_e32 v23, 0x66, v16
	v_mul_lo_u16_e32 v1, 17, v9
	v_mul_lo_u16_sdwa v36, v23, s0 dst_sel:DWORD dst_unused:UNUSED_PAD src0_sel:BYTE_0 src1_sel:DWORD
	s_mov_b32 s0, 0xf0f1
	v_sub_u16_e32 v1, v16, v1
	v_lshrrev_b16_e32 v37, 12, v36
	v_mul_u32_u24_sdwa v26, v4, s0 dst_sel:DWORD dst_unused:UNUSED_PAD src0_sel:WORD_0 src1_sel:DWORD
	v_and_b32_e32 v27, 0xff, v1
	v_mul_lo_u16_e32 v3, 17, v37
	v_lshrrev_b32_e32 v40, 20, v26
	v_mul_u32_u24_sdwa v22, v2, s0 dst_sel:DWORD dst_unused:UNUSED_PAD src0_sel:WORD_0 src1_sel:DWORD
	v_lshlrev_b32_e32 v1, 2, v27
	v_sub_u16_e32 v3, v23, v3
	v_mul_lo_u16_e32 v5, 17, v40
	v_lshrrev_b32_e32 v42, 20, v22
	s_load_dwordx4 s[8:11], s[2:3], 0x0
	s_waitcnt lgkmcnt(0)
	s_barrier
	v_and_b32_e32 v39, 0xff, v3
	v_sub_u16_e32 v41, v4, v5
	v_mul_lo_u16_e32 v5, 17, v42
	global_load_dword v50, v1, s[4:5]
	v_lshlrev_b32_e32 v3, 2, v39
	global_load_dword v51, v3, s[4:5]
	v_sub_u16_e32 v43, v2, v5
	v_mul_u32_u24_sdwa v5, v0, s0 dst_sel:DWORD dst_unused:UNUSED_PAD src0_sel:WORD_0 src1_sel:DWORD
	v_lshlrev_b32_e32 v10, 2, v41
	global_load_dword v52, v10, s[4:5]
	v_lshlrev_b32_e32 v11, 2, v43
	global_load_dword v53, v11, s[4:5]
	v_lshrrev_b32_e32 v44, 20, v5
	v_mul_lo_u16_e32 v1, 17, v44
	v_sub_u16_e32 v45, v0, v1
	v_add_u16_e32 v1, 0x1fe, v16
	v_mul_u32_u24_e32 v3, 0xf0f1, v1
	v_lshrrev_b32_e32 v46, 20, v3
	v_mul_u32_u24_sdwa v48, v6, s0 dst_sel:DWORD dst_unused:UNUSED_PAD src0_sel:WORD_0 src1_sel:DWORD
	v_lshlrev_b32_e32 v12, 2, v45
	v_mul_lo_u16_e32 v10, 17, v46
	v_lshrrev_b32_e32 v49, 20, v48
	v_sub_u16_e32 v47, v1, v10
	global_load_dword v54, v12, s[4:5]
	v_mul_lo_u16_e32 v11, 17, v49
	v_lshlrev_b32_e32 v10, 2, v47
	global_load_dword v55, v10, s[4:5]
	v_sub_u16_e32 v64, v6, v11
	v_mul_u32_u24_sdwa v72, v8, s0 dst_sel:DWORD dst_unused:UNUSED_PAD src0_sel:WORD_0 src1_sel:DWORD
	v_lshlrev_b32_e32 v10, 2, v64
	v_lshrrev_b32_e32 v65, 20, v72
	global_load_dword v56, v10, s[4:5]
	v_mul_lo_u16_e32 v10, 17, v65
	v_sub_u16_e32 v66, v8, v10
	v_lshlrev_b32_e32 v10, 2, v66
	global_load_dword v57, v10, s[4:5]
	v_mov_b32_e32 v10, 2
	v_lshlrev_b32_sdwa v21, v10, v16 dst_sel:DWORD dst_unused:UNUSED_PAD src0_sel:DWORD src1_sel:WORD_0
	v_add_u32_e32 v82, 0xc00, v21
	ds_read2_b32 v[12:13], v82 offset0:48 offset1:150
	v_add_u32_e32 v74, 0xe00, v21
	ds_read2_b32 v[24:25], v74 offset0:124 offset1:226
	;; [unrolled: 2-line block ×3, first 2 shown]
	s_waitcnt lgkmcnt(2)
	v_lshrrev_b32_e32 v59, 16, v12
	v_lshrrev_b32_e32 v61, 16, v13
	s_waitcnt lgkmcnt(1)
	v_lshrrev_b32_e32 v63, 16, v24
	v_lshrrev_b32_e32 v68, 16, v25
	v_add_u32_e32 v85, 0x1400, v21
	ds_read2_b32 v[34:35], v85 offset0:148 offset1:250
	s_waitcnt lgkmcnt(1)
	v_lshrrev_b32_e32 v70, 16, v30
	v_lshrrev_b32_e32 v73, 16, v31
	ds_read2_b32 v[10:11], v21 offset1:102
	v_add_u32_e32 v83, 0x200, v21
	s_waitcnt lgkmcnt(1)
	v_lshrrev_b32_e32 v78, 16, v34
	v_lshrrev_b32_e32 v80, 16, v35
	ds_read2_b32 v[14:15], v83 offset0:76 offset1:178
	s_waitcnt lgkmcnt(1)
	v_lshrrev_b32_e32 v58, 16, v10
	v_mul_lo_u16_e32 v9, 34, v9
	v_lshrrev_b32_e32 v60, 16, v11
	v_add_u32_e32 v75, 0x400, v21
	v_and_b32_e32 v9, 0xfe, v9
	ds_read2_b32 v[28:29], v75 offset0:152 offset1:254
	v_add_u32_e32 v84, 0x800, v21
	v_add_lshl_u32 v151, v9, v27, 2
	s_waitcnt lgkmcnt(1)
	v_lshrrev_b32_e32 v62, 16, v14
	ds_read2_b32 v[32:33], v84 offset0:100 offset1:202
	s_waitcnt lgkmcnt(0)
	s_barrier
	v_lshrrev_b32_e32 v67, 16, v15
	v_lshrrev_b32_e32 v69, 16, v28
	;; [unrolled: 1-line block ×5, first 2 shown]
	v_lshrrev_b16_e32 v27, 13, v7
	v_mul_lo_u16_e32 v7, 34, v27
	v_sub_u16_e32 v7, v16, v7
	v_mul_lo_u16_e32 v27, 0x44, v27
	v_and_b32_e32 v27, 0xfc, v27
	s_movk_i32 s6, 0x44
	v_cmp_gt_u16_e64 s[0:1], 34, v16
	s_waitcnt vmcnt(7)
	v_mul_f16_sdwa v81, v59, v50 dst_sel:DWORD dst_unused:UNUSED_PAD src0_sel:DWORD src1_sel:WORD_1
	v_fma_f16 v81, v12, v50, -v81
	v_mul_f16_sdwa v12, v12, v50 dst_sel:DWORD dst_unused:UNUSED_PAD src0_sel:DWORD src1_sel:WORD_1
	v_fma_f16 v12, v59, v50, v12
	s_waitcnt vmcnt(6)
	v_mul_f16_sdwa v59, v61, v51 dst_sel:DWORD dst_unused:UNUSED_PAD src0_sel:DWORD src1_sel:WORD_1
	v_fma_f16 v59, v13, v51, -v59
	v_mul_f16_sdwa v13, v13, v51 dst_sel:DWORD dst_unused:UNUSED_PAD src0_sel:DWORD src1_sel:WORD_1
	v_fma_f16 v13, v61, v51, v13
	;; [unrolled: 5-line block ×4, first 2 shown]
	v_sub_f16_e32 v12, v58, v12
	v_sub_f16_e32 v86, v11, v59
	;; [unrolled: 1-line block ×3, first 2 shown]
	v_fma_f16 v11, v11, 2.0, -v86
	s_waitcnt vmcnt(3)
	v_mul_f16_sdwa v68, v70, v54 dst_sel:DWORD dst_unused:UNUSED_PAD src0_sel:DWORD src1_sel:WORD_1
	v_fma_f16 v68, v30, v54, -v68
	v_mul_f16_sdwa v30, v30, v54 dst_sel:DWORD dst_unused:UNUSED_PAD src0_sel:DWORD src1_sel:WORD_1
	v_fma_f16 v30, v70, v54, v30
	s_waitcnt vmcnt(2)
	v_mul_f16_sdwa v70, v73, v55 dst_sel:DWORD dst_unused:UNUSED_PAD src0_sel:DWORD src1_sel:WORD_1
	v_fma_f16 v70, v31, v55, -v70
	v_mul_f16_sdwa v31, v31, v55 dst_sel:DWORD dst_unused:UNUSED_PAD src0_sel:DWORD src1_sel:WORD_1
	v_fma_f16 v31, v73, v55, v31
	;; [unrolled: 5-line block ×4, first 2 shown]
	v_sub_f16_e32 v80, v10, v81
	v_fma_f16 v10, v10, 2.0, -v80
	v_fma_f16 v81, v58, 2.0, -v12
	v_pack_b32_f16 v9, v10, v81
	v_pack_b32_f16 v10, v80, v12
	v_fma_f16 v60, v60, 2.0, -v13
	ds_write2_b32 v151, v9, v10 offset1:17
	v_mul_u32_u24_e32 v9, 34, v37
	v_sub_f16_e32 v61, v14, v61
	v_sub_f16_e32 v24, v62, v24
	v_add_lshl_u32 v152, v9, v39, 2
	v_pack_b32_f16 v9, v11, v60
	v_pack_b32_f16 v10, v86, v13
	v_fma_f16 v14, v14, 2.0, -v61
	v_fma_f16 v62, v62, 2.0, -v24
	ds_write2_b32 v152, v9, v10 offset1:17
	v_mad_legacy_u16 v9, v40, 34, v41
	v_sub_f16_e32 v63, v15, v63
	v_sub_f16_e32 v25, v67, v25
	v_lshlrev_b32_e32 v153, 2, v9
	v_pack_b32_f16 v9, v14, v62
	v_pack_b32_f16 v10, v61, v24
	v_fma_f16 v15, v15, 2.0, -v63
	v_fma_f16 v67, v67, 2.0, -v25
	ds_write2_b32 v153, v9, v10 offset1:17
	v_mad_legacy_u16 v9, v42, 34, v43
	v_sub_f16_e32 v68, v28, v68
	v_sub_f16_e32 v30, v69, v30
	v_lshlrev_b32_e32 v154, 2, v9
	;; [unrolled: 9-line block ×5, first 2 shown]
	v_pack_b32_f16 v9, v32, v77
	v_pack_b32_f16 v10, v73, v34
	v_fma_f16 v33, v33, 2.0, -v78
	v_fma_f16 v79, v79, 2.0, -v35
	ds_write2_b32 v157, v9, v10 offset1:17
	v_mad_legacy_u16 v9, v65, 34, v66
	v_lshlrev_b32_e32 v158, 2, v9
	v_pack_b32_f16 v9, v33, v79
	v_pack_b32_f16 v10, v78, v35
	v_lshrrev_b16_e32 v33, 13, v36
	ds_write2_b32 v158, v9, v10 offset1:17
	v_mul_lo_u16_e32 v9, 34, v33
	v_lshrrev_b32_e32 v35, 21, v26
	v_sub_u16_e32 v9, v23, v9
	v_mul_lo_u16_e32 v10, 34, v35
	v_lshrrev_b32_e32 v37, 21, v22
	v_and_b32_e32 v32, 0xff, v7
	v_and_b32_e32 v34, 0xff, v9
	v_sub_u16_e32 v36, v4, v10
	v_mul_lo_u16_e32 v10, 34, v37
	v_lshlrev_b32_e32 v7, 2, v32
	v_lshlrev_b32_e32 v9, 2, v34
	v_sub_u16_e32 v41, v2, v10
	s_waitcnt lgkmcnt(0)
	s_barrier
	global_load_dword v66, v7, s[4:5] offset:68
	global_load_dword v67, v9, s[4:5] offset:68
	v_lshlrev_b32_e32 v9, 2, v41
	v_lshrrev_b32_e32 v44, 21, v3
	global_load_dword v69, v9, s[4:5] offset:68
	v_mul_lo_u16_e32 v9, 34, v44
	v_lshrrev_b32_e32 v46, 21, v48
	v_sub_u16_e32 v45, v1, v9
	v_mul_lo_u16_e32 v9, 34, v46
	v_sub_u16_e32 v47, v6, v9
	v_lshlrev_b32_e32 v6, 2, v47
	v_lshrrev_b32_e32 v48, 21, v72
	global_load_dword v72, v6, s[4:5] offset:68
	v_mul_lo_u16_e32 v6, 34, v48
	v_lshlrev_b32_e32 v7, 2, v36
	v_sub_u16_e32 v49, v8, v6
	v_lshrrev_b32_e32 v42, 21, v5
	global_load_dword v68, v7, s[4:5] offset:68
	v_lshlrev_b32_e32 v6, 2, v49
	global_load_dword v73, v6, s[4:5] offset:68
	v_mul_lo_u16_e32 v7, 34, v42
	v_sub_u16_e32 v43, v0, v7
	v_lshlrev_b32_e32 v7, 2, v43
	global_load_dword v70, v7, s[4:5] offset:68
	v_lshlrev_b32_e32 v7, 2, v45
	global_load_dword v71, v7, s[4:5] offset:68
	ds_read2_b32 v[6:7], v21 offset1:102
	ds_read2_b32 v[8:9], v82 offset0:48 offset1:150
	ds_read2_b32 v[12:13], v74 offset0:124 offset1:226
	;; [unrolled: 1-line block ×5, first 2 shown]
	s_waitcnt lgkmcnt(4)
	v_lshrrev_b32_e32 v40, 16, v8
	v_lshrrev_b32_e32 v77, 16, v9
	s_waitcnt lgkmcnt(3)
	v_lshrrev_b32_e32 v75, 16, v12
	v_lshrrev_b32_e32 v76, 16, v13
	ds_read2_b32 v[28:29], v84 offset0:100 offset1:202
	ds_read2_b32 v[30:31], v85 offset0:148 offset1:250
	s_waitcnt lgkmcnt(4)
	v_lshrrev_b32_e32 v81, 16, v24
	v_lshrrev_b32_e32 v87, 16, v25
	;; [unrolled: 1-line block ×4, first 2 shown]
	s_waitcnt lgkmcnt(0)
	v_lshrrev_b32_e32 v89, 16, v30
	v_lshrrev_b32_e32 v91, 16, v31
	v_add_lshl_u32 v159, v27, v32, 2
	v_lshrrev_b32_e32 v78, 16, v10
	s_barrier
	v_lshrrev_b32_e32 v79, 16, v11
	v_lshrrev_b32_e32 v80, 16, v14
	;; [unrolled: 1-line block ×5, first 2 shown]
	s_waitcnt vmcnt(7)
	v_mul_f16_sdwa v92, v40, v66 dst_sel:DWORD dst_unused:UNUSED_PAD src0_sel:DWORD src1_sel:WORD_1
	v_fma_f16 v92, v8, v66, -v92
	v_mul_f16_sdwa v8, v8, v66 dst_sel:DWORD dst_unused:UNUSED_PAD src0_sel:DWORD src1_sel:WORD_1
	v_fma_f16 v8, v40, v66, v8
	s_waitcnt vmcnt(6)
	v_mul_f16_sdwa v40, v77, v67 dst_sel:DWORD dst_unused:UNUSED_PAD src0_sel:DWORD src1_sel:WORD_1
	v_fma_f16 v40, v9, v67, -v40
	v_mul_f16_sdwa v9, v9, v67 dst_sel:DWORD dst_unused:UNUSED_PAD src0_sel:DWORD src1_sel:WORD_1
	v_fma_f16 v9, v77, v67, v9
	v_sub_f16_e32 v8, v39, v8
	v_sub_f16_e32 v93, v7, v40
	;; [unrolled: 1-line block ×3, first 2 shown]
	v_fma_f16 v7, v7, 2.0, -v93
	v_fma_f16 v94, v74, 2.0, -v9
	s_waitcnt vmcnt(3)
	v_mul_f16_sdwa v77, v75, v68 dst_sel:DWORD dst_unused:UNUSED_PAD src0_sel:DWORD src1_sel:WORD_1
	v_fma_f16 v77, v12, v68, -v77
	v_mul_f16_sdwa v12, v12, v68 dst_sel:DWORD dst_unused:UNUSED_PAD src0_sel:DWORD src1_sel:WORD_1
	v_fma_f16 v12, v75, v68, v12
	v_mul_f16_sdwa v75, v76, v69 dst_sel:DWORD dst_unused:UNUSED_PAD src0_sel:DWORD src1_sel:WORD_1
	v_fma_f16 v75, v13, v69, -v75
	v_mul_f16_sdwa v13, v13, v69 dst_sel:DWORD dst_unused:UNUSED_PAD src0_sel:DWORD src1_sel:WORD_1
	v_fma_f16 v13, v76, v69, v13
	s_waitcnt vmcnt(1)
	v_mul_f16_sdwa v76, v81, v70 dst_sel:DWORD dst_unused:UNUSED_PAD src0_sel:DWORD src1_sel:WORD_1
	v_fma_f16 v76, v24, v70, -v76
	v_mul_f16_sdwa v24, v24, v70 dst_sel:DWORD dst_unused:UNUSED_PAD src0_sel:DWORD src1_sel:WORD_1
	v_fma_f16 v24, v81, v70, v24
	s_waitcnt vmcnt(0)
	v_mul_f16_sdwa v81, v87, v71 dst_sel:DWORD dst_unused:UNUSED_PAD src0_sel:DWORD src1_sel:WORD_1
	v_fma_f16 v81, v25, v71, -v81
	v_mul_f16_sdwa v25, v25, v71 dst_sel:DWORD dst_unused:UNUSED_PAD src0_sel:DWORD src1_sel:WORD_1
	v_fma_f16 v25, v87, v71, v25
	v_mul_f16_sdwa v87, v89, v72 dst_sel:DWORD dst_unused:UNUSED_PAD src0_sel:DWORD src1_sel:WORD_1
	v_fma_f16 v87, v30, v72, -v87
	v_mul_f16_sdwa v30, v30, v72 dst_sel:DWORD dst_unused:UNUSED_PAD src0_sel:DWORD src1_sel:WORD_1
	v_fma_f16 v30, v89, v72, v30
	;; [unrolled: 4-line block ×3, first 2 shown]
	v_sub_f16_e32 v91, v6, v92
	v_fma_f16 v6, v6, 2.0, -v91
	v_fma_f16 v92, v39, 2.0, -v8
	v_pack_b32_f16 v6, v6, v92
	v_pack_b32_f16 v8, v91, v8
	ds_write2_b32 v159, v6, v8 offset1:34
	v_mul_u32_u24_e32 v6, 0x44, v33
	v_sub_f16_e32 v77, v10, v77
	v_sub_f16_e32 v12, v78, v12
	v_add_lshl_u32 v160, v6, v34, 2
	v_pack_b32_f16 v6, v7, v94
	v_pack_b32_f16 v7, v93, v9
	v_fma_f16 v10, v10, 2.0, -v77
	v_fma_f16 v78, v78, 2.0, -v12
	ds_write2_b32 v160, v6, v7 offset1:34
	v_mad_legacy_u16 v6, v35, s6, v36
	v_sub_f16_e32 v95, v11, v75
	v_sub_f16_e32 v13, v79, v13
	v_lshlrev_b32_e32 v161, 2, v6
	v_pack_b32_f16 v6, v10, v78
	v_pack_b32_f16 v7, v77, v12
	v_fma_f16 v11, v11, 2.0, -v95
	v_fma_f16 v79, v79, 2.0, -v13
	ds_write2_b32 v161, v6, v7 offset1:34
	v_mad_legacy_u16 v6, v37, s6, v41
	v_sub_f16_e32 v96, v14, v76
	v_sub_f16_e32 v24, v80, v24
	v_lshlrev_b32_e32 v162, 2, v6
	;; [unrolled: 9-line block ×5, first 2 shown]
	v_pack_b32_f16 v6, v28, v88
	v_pack_b32_f16 v7, v87, v30
	v_fma_f16 v29, v29, 2.0, -v39
	v_fma_f16 v31, v90, 2.0, -v40
	ds_write2_b32 v165, v6, v7 offset1:34
	v_mad_legacy_u16 v6, v48, s6, v49
	v_lshlrev_b32_e32 v166, 2, v6
	v_pack_b32_f16 v6, v29, v31
	v_pack_b32_f16 v7, v39, v40
	ds_write2_b32 v166, v6, v7 offset1:34
	v_add_u32_e32 v6, 0x600, v21
	v_add_u32_e32 v8, 0x1000, v21
	s_waitcnt lgkmcnt(0)
	s_barrier
	ds_read2_b32 v[10:11], v21 offset1:102
	ds_read2_b32 v[6:7], v6 offset0:24 offset1:160
	ds_read2_b32 v[34:35], v8 offset0:64 offset1:166
	;; [unrolled: 1-line block ×6, first 2 shown]
	ds_read_b32 v41, v21 offset:5984
                                        ; implicit-def: $vgpr42
                                        ; implicit-def: $vgpr43
	s_and_saveexec_b64 s[2:3], s[0:1]
	s_cbranch_execz .LBB0_9
; %bb.8:
	ds_read_b32 v39, v21 offset:2040
	ds_read_b32 v19, v21 offset:4216
	;; [unrolled: 1-line block ×3, first 2 shown]
	s_waitcnt lgkmcnt(2)
	v_lshrrev_b32_e32 v40, 16, v39
	s_waitcnt lgkmcnt(1)
	v_lshrrev_b32_e32 v38, 16, v19
	;; [unrolled: 2-line block ×3, first 2 shown]
.LBB0_9:
	s_or_b64 exec, exec, s[2:3]
	s_movk_i32 s2, 0xffbc
	s_mov_b32 s3, -1
	v_lshl_add_u64 v[24:25], v[16:17], 0, s[2:3]
	v_cmp_gt_u16_e64 s[2:3], s6, v16
	v_lshrrev_b32_e32 v48, 22, v26
	v_mul_lo_u16_e32 v26, 0x44, v48
	v_cndmask_b32_e64 v45, v25, 0, s[2:3]
	v_cndmask_b32_e64 v44, v24, v16, s[2:3]
	s_movk_i32 s2, 0x79
	v_mul_lo_u16_sdwa v17, v23, s2 dst_sel:DWORD dst_unused:UNUSED_PAD src0_sel:BYTE_0 src1_sel:DWORD
	v_lshrrev_b16_e32 v17, 13, v17
	v_mul_lo_u16_e32 v27, 0x44, v17
	v_lshrrev_b32_e32 v85, 22, v22
	v_sub_u16_e32 v23, v23, v27
	v_sub_u16_e32 v49, v4, v26
	v_mul_lo_u16_e32 v4, 0x44, v85
	v_lshrrev_b32_e32 v89, 22, v5
	v_lshl_add_u64 v[24:25], v[44:45], 3, s[4:5]
	v_and_b32_e32 v45, 0xff, v23
	v_lshlrev_b16_e32 v46, 3, v49
	v_mov_b32_e32 v47, 0
	v_sub_u16_e32 v86, v2, v4
	v_mul_lo_u16_e32 v2, 0x44, v89
	v_lshlrev_b32_e32 v23, 3, v45
	v_lshl_add_u64 v[26:27], s[4:5], 0, v[46:47]
	v_lshlrev_b16_e32 v46, 3, v86
	v_sub_u16_e32 v90, v0, v2
	global_load_dwordx2 v[24:25], v[24:25], off offset:204
	v_lshrrev_b32_e32 v0, 22, v3
	global_load_dwordx2 v[28:29], v[26:27], off offset:204
	global_load_dwordx2 v[30:31], v23, s[4:5] offset:204
	v_lshl_add_u64 v[22:23], s[4:5], 0, v[46:47]
	v_lshlrev_b16_e32 v46, 3, v90
	v_lshl_add_u64 v[4:5], s[4:5], 0, v[46:47]
	v_mul_lo_u16_e32 v0, 0x44, v0
	global_load_dwordx2 v[26:27], v[22:23], off offset:204
	global_load_dwordx2 v[32:33], v[4:5], off offset:204
	v_sub_u16_e32 v4, v1, v0
	v_lshlrev_b16_e32 v46, 3, v4
	v_lshl_add_u64 v[0:1], s[4:5], 0, v[46:47]
	global_load_dwordx2 v[22:23], v[0:1], off offset:204
	s_waitcnt lgkmcnt(6)
	v_lshrrev_b32_e32 v0, 16, v7
	s_waitcnt lgkmcnt(5)
	v_lshrrev_b32_e32 v1, 16, v34
	;; [unrolled: 2-line block ×3, first 2 shown]
	v_lshrrev_b32_e32 v3, 16, v35
	s_waitcnt lgkmcnt(1)
	v_lshrrev_b32_e32 v92, 16, v13
	s_waitcnt lgkmcnt(0)
	v_lshrrev_b32_e32 v93, 16, v41
	v_lshrrev_b32_e32 v5, 16, v10
	s_movk_i32 s2, 0x3aee
	s_mov_b32 s3, 0xbaee
	v_lshrrev_b32_e32 v46, 16, v11
	v_lshrrev_b32_e32 v82, 16, v37
	;; [unrolled: 1-line block ×8, first 2 shown]
	s_barrier
	s_movk_i32 s6, 0xcc
	v_lshlrev_b32_e32 v167, 2, v4
	s_waitcnt vmcnt(5)
	v_mul_f16_sdwa v94, v0, v24 dst_sel:DWORD dst_unused:UNUSED_PAD src0_sel:DWORD src1_sel:WORD_1
	v_mul_f16_sdwa v95, v7, v24 dst_sel:DWORD dst_unused:UNUSED_PAD src0_sel:DWORD src1_sel:WORD_1
	;; [unrolled: 1-line block ×4, first 2 shown]
	v_fma_f16 v7, v7, v24, -v94
	v_fma_f16 v94, v0, v24, v95
	s_waitcnt vmcnt(3)
	v_mul_f16_sdwa v0, v2, v30 dst_sel:DWORD dst_unused:UNUSED_PAD src0_sel:DWORD src1_sel:WORD_1
	v_fma_f16 v34, v34, v25, -v96
	v_fma_f16 v95, v1, v25, v97
	v_mul_f16_sdwa v1, v36, v30 dst_sel:DWORD dst_unused:UNUSED_PAD src0_sel:DWORD src1_sel:WORD_1
	v_mul_f16_sdwa v96, v3, v31 dst_sel:DWORD dst_unused:UNUSED_PAD src0_sel:DWORD src1_sel:WORD_1
	;; [unrolled: 1-line block ×3, first 2 shown]
	s_waitcnt vmcnt(1)
	v_mul_f16_sdwa v106, v92, v32 dst_sel:DWORD dst_unused:UNUSED_PAD src0_sel:DWORD src1_sel:WORD_1
	v_fma_f16 v36, v36, v30, -v0
	v_mul_f16_sdwa v0, v13, v32 dst_sel:DWORD dst_unused:UNUSED_PAD src0_sel:DWORD src1_sel:WORD_1
	v_fma_f16 v35, v35, v31, -v96
	v_fma_f16 v96, v3, v31, v97
	v_fma_f16 v97, v13, v32, -v106
	v_fma_f16 v13, v92, v32, v0
	v_mul_f16_sdwa v0, v93, v33 dst_sel:DWORD dst_unused:UNUSED_PAD src0_sel:DWORD src1_sel:WORD_1
	v_fma_f16 v107, v2, v30, v1
	v_fma_f16 v92, v41, v33, -v0
	v_mul_f16_sdwa v0, v41, v33 dst_sel:DWORD dst_unused:UNUSED_PAD src0_sel:DWORD src1_sel:WORD_1
	s_waitcnt vmcnt(0)
	v_mul_f16_sdwa v1, v19, v22 dst_sel:DWORD dst_unused:UNUSED_PAD src0_sel:DWORD src1_sel:WORD_1
	v_fma_f16 v41, v93, v33, v0
	v_mul_f16_sdwa v0, v38, v22 dst_sel:DWORD dst_unused:UNUSED_PAD src0_sel:DWORD src1_sel:WORD_1
	v_fma_f16 v2, v38, v22, v1
	v_mul_f16_sdwa v3, v42, v23 dst_sel:DWORD dst_unused:UNUSED_PAD src0_sel:DWORD src1_sel:WORD_1
	v_add_f16_e32 v38, v7, v34
	v_fma_f16 v0, v19, v22, -v0
	v_mul_f16_sdwa v1, v43, v23 dst_sel:DWORD dst_unused:UNUSED_PAD src0_sel:DWORD src1_sel:WORD_1
	v_fma_f16 v3, v43, v23, v3
	v_add_f16_e32 v19, v10, v7
	v_fma_f16 v10, v38, -0.5, v10
	v_sub_f16_e32 v38, v94, v95
	v_add_f16_e32 v43, v94, v95
	v_fma_f16 v1, v42, v23, -v1
	v_fma_f16 v42, v38, s2, v10
	v_fma_f16 v10, v38, s3, v10
	v_add_f16_e32 v38, v5, v94
	v_fma_f16 v5, v43, -0.5, v5
	v_sub_f16_e32 v7, v7, v34
	v_add_f16_e32 v43, v36, v35
	v_add_f16_e32 v19, v19, v34
	v_fma_f16 v34, v7, s3, v5
	v_fma_f16 v5, v7, s2, v5
	v_add_f16_e32 v7, v11, v36
	v_fma_f16 v11, v43, -0.5, v11
	v_sub_f16_e32 v43, v107, v96
	v_fma_f16 v93, v43, s2, v11
	v_fma_f16 v43, v43, s3, v11
	v_add_f16_e32 v11, v46, v107
	v_mul_f16_sdwa v98, v82, v28 dst_sel:DWORD dst_unused:UNUSED_PAD src0_sel:DWORD src1_sel:WORD_1
	v_add_f16_e32 v94, v11, v96
	v_add_f16_e32 v11, v107, v96
	v_mul_f16_sdwa v99, v37, v28 dst_sel:DWORD dst_unused:UNUSED_PAD src0_sel:DWORD src1_sel:WORD_1
	v_mul_f16_sdwa v100, v83, v29 dst_sel:DWORD dst_unused:UNUSED_PAD src0_sel:DWORD src1_sel:WORD_1
	v_fma_f16 v37, v37, v28, -v98
	v_add_f16_e32 v7, v7, v35
	v_fma_f16 v11, v11, -0.5, v46
	v_sub_f16_e32 v35, v36, v35
	v_mul_f16_sdwa v101, v14, v29 dst_sel:DWORD dst_unused:UNUSED_PAD src0_sel:DWORD src1_sel:WORD_1
	v_fma_f16 v14, v14, v29, -v100
	v_fma_f16 v36, v35, s3, v11
	v_fma_f16 v35, v35, s2, v11
	v_add_f16_e32 v11, v8, v37
	v_fma_f16 v82, v82, v28, v99
	v_fma_f16 v83, v83, v29, v101
	v_add_f16_e32 v46, v11, v14
	v_add_f16_e32 v11, v37, v14
	v_fma_f16 v8, v11, -0.5, v8
	v_sub_f16_e32 v11, v82, v83
	v_add_f16_e32 v38, v38, v95
	v_fma_f16 v95, v11, s2, v8
	v_fma_f16 v8, v11, s3, v8
	v_add_f16_e32 v11, v47, v82
	v_mul_f16_sdwa v102, v87, v26 dst_sel:DWORD dst_unused:UNUSED_PAD src0_sel:DWORD src1_sel:WORD_1
	v_add_f16_e32 v96, v11, v83
	v_add_f16_e32 v11, v82, v83
	v_mul_f16_sdwa v103, v12, v26 dst_sel:DWORD dst_unused:UNUSED_PAD src0_sel:DWORD src1_sel:WORD_1
	v_mul_f16_sdwa v104, v88, v27 dst_sel:DWORD dst_unused:UNUSED_PAD src0_sel:DWORD src1_sel:WORD_1
	v_fma_f16 v12, v12, v26, -v102
	v_fma_f16 v11, v11, -0.5, v47
	v_sub_f16_e32 v14, v37, v14
	v_mul_f16_sdwa v105, v15, v27 dst_sel:DWORD dst_unused:UNUSED_PAD src0_sel:DWORD src1_sel:WORD_1
	v_fma_f16 v15, v15, v27, -v104
	v_fma_f16 v37, v14, s3, v11
	v_fma_f16 v14, v14, s2, v11
	v_add_f16_e32 v11, v9, v12
	v_fma_f16 v87, v87, v26, v103
	v_fma_f16 v88, v88, v27, v105
	v_add_f16_e32 v47, v11, v15
	v_add_f16_e32 v11, v12, v15
	v_fma_f16 v9, v11, -0.5, v9
	v_sub_f16_e32 v11, v87, v88
	v_fma_f16 v98, v11, s2, v9
	v_fma_f16 v9, v11, s3, v9
	v_add_f16_e32 v11, v84, v87
	v_add_f16_e32 v99, v11, v88
	v_add_f16_e32 v11, v87, v88
	v_fma_f16 v11, v11, -0.5, v84
	v_sub_f16_e32 v12, v12, v15
	v_fma_f16 v100, v12, s3, v11
	v_fma_f16 v12, v12, s2, v11
	v_add_f16_e32 v11, v6, v97
	;; [unrolled: 7-line block ×4, first 2 shown]
	v_fma_f16 v11, v11, -0.5, v39
	v_sub_f16_e32 v15, v2, v3
	v_fma_f16 v88, v15, s2, v11
	v_fma_f16 v11, v15, s3, v11
	v_add_f16_e32 v15, v2, v3
	v_fma_f16 v15, v15, -0.5, v40
	v_sub_f16_e32 v82, v0, v1
	v_fma_f16 v87, v82, s3, v15
	v_fma_f16 v15, v82, s2, v15
	s_movk_i32 s2, 0x43
	v_mov_b32_e32 v82, 0xcc
	v_cmp_lt_u16_e64 s[2:3], s2, v16
	v_pack_b32_f16 v5, v10, v5
	v_pack_b32_f16 v19, v19, v38
	v_cndmask_b32_e64 v82, 0, v82, s[2:3]
	v_add_lshl_u32 v82, v44, v82, 2
	ds_write_b32 v82, v5 offset:544
	v_mul_u32_u24_e32 v5, 0xcc, v17
	v_pack_b32_f16 v34, v42, v34
	v_add_lshl_u32 v83, v5, v45, 2
	v_pack_b32_f16 v5, v7, v94
	v_pack_b32_f16 v7, v93, v36
	ds_write2_b32 v82, v19, v34 offset1:68
	ds_write2_b32 v83, v5, v7 offset1:68
	v_pack_b32_f16 v5, v43, v35
	ds_write_b32 v83, v5 offset:544
	v_mad_legacy_u16 v5, v48, s6, v49
	v_lshlrev_b32_e32 v84, 2, v5
	v_pack_b32_f16 v5, v46, v96
	v_pack_b32_f16 v7, v95, v37
	ds_write2_b32 v84, v5, v7 offset1:68
	v_pack_b32_f16 v5, v8, v14
	ds_write_b32 v84, v5 offset:544
	v_mad_legacy_u16 v5, v85, s6, v86
	v_lshlrev_b32_e32 v85, 2, v5
	v_pack_b32_f16 v5, v47, v99
	v_pack_b32_f16 v7, v98, v100
	;; [unrolled: 7-line block ×3, first 2 shown]
	ds_write2_b32 v86, v5, v7 offset1:68
	v_pack_b32_f16 v5, v6, v13
	ds_write_b32 v86, v5 offset:544
	s_and_saveexec_b64 s[2:3], s[0:1]
	s_cbranch_execz .LBB0_11
; %bb.10:
	v_add_f16_e32 v2, v40, v2
	v_add_f16_e32 v0, v39, v0
	;; [unrolled: 1-line block ×4, first 2 shown]
	s_mov_b32 s6, 0x5040100
	v_pack_b32_f16 v0, v0, v2
	v_perm_b32 v1, v87, v88, s6
	v_add_u32_e32 v2, 0x1400, v167
	ds_write2_b32 v2, v0, v1 offset0:148 offset1:216
	v_perm_b32 v0, v15, v11, s6
	ds_write_b32 v167, v0 offset:6256
.LBB0_11:
	s_or_b64 exec, exec, s[2:3]
	v_mad_u64_u32 v[34:35], s[2:3], v16, 28, s[4:5]
	s_waitcnt lgkmcnt(0)
	s_barrier
	global_load_dwordx4 v[0:3], v[34:35], off offset:748
	global_load_dwordx3 v[8:10], v[34:35], off offset:764
	global_load_dwordx4 v[4:7], v[34:35], off offset:3604
	global_load_dwordx3 v[12:14], v[34:35], off offset:3620
	v_add_u32_e32 v19, 0x200, v21
	ds_read2_b32 v[42:43], v21 offset1:102
	v_add_u32_e32 v105, 0x400, v21
	v_add_u32_e32 v106, 0x800, v21
	;; [unrolled: 1-line block ×6, first 2 shown]
	ds_read2_b32 v[34:35], v19 offset0:76 offset1:178
	ds_read2_b32 v[36:37], v105 offset0:152 offset1:254
	;; [unrolled: 1-line block ×7, first 2 shown]
	s_waitcnt lgkmcnt(6)
	v_lshrrev_b32_e32 v90, 16, v34
	v_lshrrev_b32_e32 v98, 16, v35
	s_waitcnt lgkmcnt(4)
	v_lshrrev_b32_e32 v92, 16, v38
	s_waitcnt lgkmcnt(2)
	;; [unrolled: 2-line block ×3, first 2 shown]
	v_lshrrev_b32_e32 v103, 16, v47
	v_lshrrev_b32_e32 v91, 16, v36
	;; [unrolled: 1-line block ×5, first 2 shown]
	s_waitcnt lgkmcnt(0)
	v_lshrrev_b32_e32 v96, 16, v48
	v_lshrrev_b32_e32 v104, 16, v49
	;; [unrolled: 1-line block ×6, first 2 shown]
	s_mov_b32 s2, 0xb9a8
	s_movk_i32 s3, 0x39a8
	v_lshrrev_b32_e32 v97, 16, v43
	s_waitcnt vmcnt(3)
	v_mul_f16_sdwa v111, v90, v0 dst_sel:DWORD dst_unused:UNUSED_PAD src0_sel:DWORD src1_sel:WORD_1
	v_mul_f16_sdwa v112, v34, v0 dst_sel:DWORD dst_unused:UNUSED_PAD src0_sel:DWORD src1_sel:WORD_1
	s_waitcnt vmcnt(1)
	v_mul_f16_sdwa v125, v98, v4 dst_sel:DWORD dst_unused:UNUSED_PAD src0_sel:DWORD src1_sel:WORD_1
	v_mul_f16_sdwa v115, v92, v2 dst_sel:DWORD dst_unused:UNUSED_PAD src0_sel:DWORD src1_sel:WORD_1
	;; [unrolled: 1-line block ×3, first 2 shown]
	v_fma_f16 v34, v34, v0, -v111
	v_fma_f16 v111, v35, v4, -v125
	s_waitcnt vmcnt(0)
	v_mul_f16_sdwa v35, v102, v12 dst_sel:DWORD dst_unused:UNUSED_PAD src0_sel:DWORD src1_sel:WORD_1
	v_mul_f16_sdwa v116, v38, v2 dst_sel:DWORD dst_unused:UNUSED_PAD src0_sel:DWORD src1_sel:WORD_1
	v_fma_f16 v38, v38, v2, -v115
	v_fma_f16 v115, v45, v12, -v35
	v_mul_f16_sdwa v35, v45, v12 dst_sel:DWORD dst_unused:UNUSED_PAD src0_sel:DWORD src1_sel:WORD_1
	v_fma_f16 v45, v102, v12, v35
	v_mul_f16_sdwa v35, v103, v13 dst_sel:DWORD dst_unused:UNUSED_PAD src0_sel:DWORD src1_sel:WORD_1
	v_fma_f16 v102, v47, v13, -v35
	v_mul_f16_sdwa v35, v47, v13 dst_sel:DWORD dst_unused:UNUSED_PAD src0_sel:DWORD src1_sel:WORD_1
	v_mul_f16_sdwa v113, v91, v1 dst_sel:DWORD dst_unused:UNUSED_PAD src0_sel:DWORD src1_sel:WORD_1
	;; [unrolled: 1-line block ×6, first 2 shown]
	v_fma_f16 v47, v103, v13, v35
	v_mul_f16_sdwa v35, v104, v14 dst_sel:DWORD dst_unused:UNUSED_PAD src0_sel:DWORD src1_sel:WORD_1
	v_mul_f16_sdwa v114, v36, v1 dst_sel:DWORD dst_unused:UNUSED_PAD src0_sel:DWORD src1_sel:WORD_1
	;; [unrolled: 1-line block ×7, first 2 shown]
	v_fma_f16 v36, v36, v1, -v113
	v_fma_f16 v40, v40, v3, -v117
	;; [unrolled: 1-line block ×6, first 2 shown]
	v_mul_f16_sdwa v35, v49, v14 dst_sel:DWORD dst_unused:UNUSED_PAD src0_sel:DWORD src1_sel:WORD_1
	v_mul_f16_sdwa v127, v99, v5 dst_sel:DWORD dst_unused:UNUSED_PAD src0_sel:DWORD src1_sel:WORD_1
	;; [unrolled: 1-line block ×4, first 2 shown]
	v_fma_f16 v91, v91, v1, v114
	v_fma_f16 v93, v93, v3, v118
	;; [unrolled: 1-line block ×3, first 2 shown]
	v_fma_f16 v114, v41, v7, -v131
	v_fma_f16 v49, v104, v14, v35
	v_sub_f16_e32 v35, v42, v40
	v_sub_f16_e32 v41, v36, v46
	;; [unrolled: 1-line block ×4, first 2 shown]
	v_mul_f16_sdwa v128, v37, v5 dst_sel:DWORD dst_unused:UNUSED_PAD src0_sel:DWORD src1_sel:WORD_1
	v_mul_f16_sdwa v130, v39, v6 dst_sel:DWORD dst_unused:UNUSED_PAD src0_sel:DWORD src1_sel:WORD_1
	v_fma_f16 v90, v90, v0, v112
	v_fma_f16 v92, v92, v2, v116
	;; [unrolled: 1-line block ×4, first 2 shown]
	v_fma_f16 v112, v37, v5, -v127
	v_fma_f16 v113, v39, v6, -v129
	v_sub_f16_e32 v37, v89, v93
	v_fma_f16 v39, v42, 2.0, -v35
	v_sub_f16_e32 v42, v91, v95
	v_fma_f16 v36, v36, 2.0, -v41
	v_fma_f16 v34, v34, 2.0, -v44
	;; [unrolled: 1-line block ×5, first 2 shown]
	v_sub_f16_e32 v89, v90, v94
	v_sub_f16_e32 v91, v92, v96
	;; [unrolled: 1-line block ×4, first 2 shown]
	v_fma_f16 v90, v90, 2.0, -v89
	v_fma_f16 v92, v92, 2.0, -v91
	v_fma_f16 v39, v39, 2.0, -v93
	v_add_f16_e32 v94, v37, v41
	v_fma_f16 v34, v34, 2.0, -v38
	v_add_f16_e32 v48, v89, v48
	v_sub_f16_e32 v46, v40, v46
	v_sub_f16_e32 v42, v35, v42
	v_fma_f16 v41, v37, 2.0, -v94
	v_sub_f16_e32 v95, v90, v92
	v_sub_f16_e32 v96, v44, v91
	v_fma_f16 v91, v89, 2.0, -v48
	v_sub_f16_e32 v36, v39, v34
	v_fma_f16 v40, v40, 2.0, -v46
	v_fma_f16 v35, v35, 2.0, -v42
	;; [unrolled: 1-line block ×5, first 2 shown]
	v_fma_f16 v39, v91, s2, v41
	v_sub_f16_e32 v89, v40, v37
	v_fma_f16 v37, v44, s2, v35
	v_fma_f16 v92, v44, s3, v39
	;; [unrolled: 1-line block ×5, first 2 shown]
	v_fma_f16 v91, v41, 2.0, -v92
	v_fma_f16 v44, v48, s3, v94
	v_fma_f16 v41, v48, s2, v39
	v_fma_f16 v98, v98, v4, v126
	v_fma_f16 v99, v99, v5, v128
	v_fma_f16 v100, v100, v6, v130
	v_fma_f16 v90, v40, 2.0, -v89
	v_sub_f16_e32 v40, v93, v95
	v_add_f16_e32 v95, v46, v38
	v_fma_f16 v96, v96, s3, v44
	v_fma_f16 v39, v42, 2.0, -v41
	v_sub_f16_e32 v42, v43, v114
	v_sub_f16_e32 v44, v97, v101
	;; [unrolled: 1-line block ×5, first 2 shown]
	v_fma_f16 v38, v93, 2.0, -v40
	v_fma_f16 v93, v46, 2.0, -v95
	;; [unrolled: 1-line block ×4, first 2 shown]
	v_sub_f16_e32 v47, v99, v47
	v_fma_f16 v97, v112, 2.0, -v48
	v_sub_f16_e32 v45, v98, v45
	v_fma_f16 v102, v111, 2.0, -v101
	;; [unrolled: 2-line block ×3, first 2 shown]
	v_fma_f16 v99, v99, 2.0, -v47
	v_fma_f16 v98, v98, 2.0, -v45
	;; [unrolled: 1-line block ×3, first 2 shown]
	v_sub_f16_e32 v111, v43, v97
	v_sub_f16_e32 v47, v42, v47
	;; [unrolled: 1-line block ×4, first 2 shown]
	v_fma_f16 v43, v43, 2.0, -v111
	v_add_f16_e32 v112, v44, v48
	v_fma_f16 v48, v42, 2.0, -v47
	v_sub_f16_e32 v114, v98, v100
	v_fma_f16 v42, v102, 2.0, -v104
	v_sub_f16_e32 v115, v101, v49
	v_fma_f16 v46, v46, 2.0, -v99
	v_fma_f16 v113, v44, 2.0, -v112
	;; [unrolled: 1-line block ×3, first 2 shown]
	v_add_f16_e32 v49, v45, v103
	v_fma_f16 v98, v101, 2.0, -v115
	v_sub_f16_e32 v44, v43, v42
	v_fma_f16 v45, v45, 2.0, -v49
	v_sub_f16_e32 v100, v46, v97
	v_fma_f16 v42, v43, 2.0, -v44
	v_fma_f16 v43, v98, s2, v48
	v_fma_f16 v97, v46, 2.0, -v100
	v_fma_f16 v46, v45, s2, v113
	v_fma_f16 v45, v45, s2, v43
	;; [unrolled: 1-line block ×3, first 2 shown]
	v_fma_f16 v43, v48, 2.0, -v45
	v_sub_f16_e32 v48, v111, v114
	v_add_f16_e32 v102, v99, v104
	v_fma_f16 v104, v49, s3, v112
	v_fma_f16 v35, v35, 2.0, -v37
	v_fma_f16 v98, v113, 2.0, -v101
	;; [unrolled: 1-line block ×3, first 2 shown]
	v_fma_f16 v103, v115, s3, v47
	v_fma_f16 v104, v115, s3, v104
	v_pack_b32_f16 v111, v34, v90
	v_pack_b32_f16 v119, v42, v97
	v_fma_f16 v99, v99, 2.0, -v102
	v_fma_f16 v49, v49, s2, v103
	v_fma_f16 v103, v112, 2.0, -v104
	v_pack_b32_f16 v112, v35, v91
	ds_write2_b32 v21, v111, v119 offset1:102
	v_pack_b32_f16 v111, v43, v98
	v_fma_f16 v94, v94, 2.0, -v96
	v_fma_f16 v47, v47, 2.0, -v49
	v_pack_b32_f16 v113, v38, v93
	ds_write2_b32 v19, v112, v111 offset0:76 offset1:178
	v_pack_b32_f16 v19, v46, v99
	v_pack_b32_f16 v114, v39, v94
	ds_write2_b32 v105, v113, v19 offset0:152 offset1:254
	v_pack_b32_f16 v19, v47, v103
	;; [unrolled: 3-line block ×6, first 2 shown]
	ds_write2_b32 v110, v118, v19 offset0:148 offset1:250
	s_waitcnt lgkmcnt(0)
	s_barrier
	s_and_saveexec_b64 s[4:5], vcc
	s_cbranch_execz .LBB0_13
; %bb.12:
	s_add_u32 s6, s12, 0x1980
	s_addc_u32 s7, s13, 0
	global_load_dword v105, v18, s[6:7]
	global_load_dword v116, v18, s[6:7] offset:384
	global_load_dword v117, v18, s[6:7] offset:768
	global_load_dword v118, v18, s[6:7] offset:1152
	global_load_dword v119, v18, s[6:7] offset:1536
	global_load_dword v120, v18, s[6:7] offset:1920
	global_load_dword v121, v18, s[6:7] offset:2304
	global_load_dword v122, v18, s[6:7] offset:2688
	global_load_dword v123, v18, s[6:7] offset:3072
	global_load_dword v128, v18, s[6:7] offset:3456
	v_mov_b32_e32 v19, 0
	ds_read_b32 v108, v21
	v_or_b32_e32 v110, 0x1800, v18
	v_lshl_add_u64 v[106:107], s[6:7], 0, v[18:19]
	global_load_dword v19, v18, s[6:7] offset:3840
	global_load_dword v129, v110, s[6:7]
	s_movk_i32 s2, 0x1000
	v_add_co_u32_e64 v106, s[2:3], s2, v106
	v_or_b32_e32 v109, 0x1200, v18
	s_nop 0
	v_addc_co_u32_e64 v107, s[2:3], 0, v107, s[2:3]
	global_load_dword v130, v[106:107], off offset:128
	global_load_dword v131, v[106:107], off offset:896
	global_load_dword v132, v[106:107], off offset:1280
	global_load_dword v133, v109, s[6:7]
                                        ; kill: killed $vgpr109
                                        ; kill: killed $sgpr6 killed $sgpr7
	global_load_dword v134, v[106:107], off offset:1664
	s_waitcnt lgkmcnt(0)
	v_lshrrev_b32_e32 v106, 16, v108
	v_add_u32_e32 v124, 0x400, v18
	v_add_u32_e32 v125, 0x600, v18
	;; [unrolled: 1-line block ×4, first 2 shown]
	s_waitcnt vmcnt(16)
	v_mul_f16_sdwa v107, v106, v105 dst_sel:DWORD dst_unused:UNUSED_PAD src0_sel:DWORD src1_sel:WORD_1
	v_mul_f16_sdwa v109, v108, v105 dst_sel:DWORD dst_unused:UNUSED_PAD src0_sel:DWORD src1_sel:WORD_1
	v_fma_f16 v107, v108, v105, -v107
	v_fma_f16 v105, v106, v105, v109
	v_pack_b32_f16 v105, v107, v105
	ds_write_b32 v21, v105
	ds_read2_b32 v[106:107], v18 offset0:96 offset1:192
	ds_read2_b32 v[108:109], v124 offset0:32 offset1:128
	;; [unrolled: 1-line block ×5, first 2 shown]
	s_waitcnt lgkmcnt(4)
	v_lshrrev_b32_e32 v105, 16, v106
	s_waitcnt vmcnt(15)
	v_mul_f16_sdwa v135, v106, v116 dst_sel:DWORD dst_unused:UNUSED_PAD src0_sel:DWORD src1_sel:WORD_1
	v_lshrrev_b32_e32 v136, 16, v107
	s_waitcnt vmcnt(14)
	v_mul_f16_sdwa v137, v107, v117 dst_sel:DWORD dst_unused:UNUSED_PAD src0_sel:DWORD src1_sel:WORD_1
	s_waitcnt lgkmcnt(3)
	v_lshrrev_b32_e32 v138, 16, v108
	s_waitcnt vmcnt(13)
	v_mul_f16_sdwa v139, v108, v118 dst_sel:DWORD dst_unused:UNUSED_PAD src0_sel:DWORD src1_sel:WORD_1
	v_lshrrev_b32_e32 v140, 16, v109
	s_waitcnt vmcnt(12)
	v_mul_f16_sdwa v141, v109, v119 dst_sel:DWORD dst_unused:UNUSED_PAD src0_sel:DWORD src1_sel:WORD_1
	;; [unrolled: 7-line block ×3, first 2 shown]
	s_waitcnt lgkmcnt(1)
	v_lshrrev_b32_e32 v146, 16, v112
	s_waitcnt vmcnt(9)
	v_mul_f16_sdwa v147, v112, v122 dst_sel:DWORD dst_unused:UNUSED_PAD src0_sel:DWORD src1_sel:WORD_1
	v_lshrrev_b32_e32 v148, 16, v113
	v_mul_f16_sdwa v150, v105, v116 dst_sel:DWORD dst_unused:UNUSED_PAD src0_sel:DWORD src1_sel:WORD_1
	v_fma_f16 v105, v105, v116, v135
	v_mul_f16_sdwa v135, v136, v117 dst_sel:DWORD dst_unused:UNUSED_PAD src0_sel:DWORD src1_sel:WORD_1
	s_waitcnt vmcnt(8)
	v_mul_f16_sdwa v149, v113, v123 dst_sel:DWORD dst_unused:UNUSED_PAD src0_sel:DWORD src1_sel:WORD_1
	v_fma_f16 v136, v136, v117, v137
	v_mul_f16_sdwa v137, v138, v118 dst_sel:DWORD dst_unused:UNUSED_PAD src0_sel:DWORD src1_sel:WORD_1
	v_fma_f16 v138, v138, v118, v139
	;; [unrolled: 2-line block ×6, first 2 shown]
	v_mul_f16_sdwa v147, v148, v123 dst_sel:DWORD dst_unused:UNUSED_PAD src0_sel:DWORD src1_sel:WORD_1
	v_fma_f16 v106, v106, v116, -v150
	v_fma_f16 v107, v107, v117, -v135
	v_fma_f16 v148, v148, v123, v149
	v_fma_f16 v108, v108, v118, -v137
	v_fma_f16 v109, v109, v119, -v139
	;; [unrolled: 1-line block ×6, first 2 shown]
	v_pack_b32_f16 v105, v106, v105
	v_pack_b32_f16 v106, v107, v136
	;; [unrolled: 1-line block ×8, first 2 shown]
	ds_write2_b32 v18, v105, v106 offset0:96 offset1:192
	ds_write2_b32 v124, v107, v108 offset0:32 offset1:128
	;; [unrolled: 1-line block ×4, first 2 shown]
	s_waitcnt lgkmcnt(4)
	v_lshrrev_b32_e32 v105, 16, v114
	s_waitcnt vmcnt(7)
	v_mul_f16_sdwa v106, v105, v128 dst_sel:DWORD dst_unused:UNUSED_PAD src0_sel:DWORD src1_sel:WORD_1
	v_mul_f16_sdwa v107, v114, v128 dst_sel:DWORD dst_unused:UNUSED_PAD src0_sel:DWORD src1_sel:WORD_1
	v_fma_f16 v106, v114, v128, -v106
	v_fma_f16 v105, v105, v128, v107
	v_lshrrev_b32_e32 v108, 16, v115
	v_pack_b32_f16 v105, v106, v105
	s_waitcnt vmcnt(6)
	v_mul_f16_sdwa v106, v108, v19 dst_sel:DWORD dst_unused:UNUSED_PAD src0_sel:DWORD src1_sel:WORD_1
	v_add_u32_e32 v110, 0x1000, v18
	v_fma_f16 v109, v115, v19, -v106
	ds_read2_b32 v[106:107], v110 offset0:32 offset1:128
	v_mul_f16_sdwa v111, v115, v19 dst_sel:DWORD dst_unused:UNUSED_PAD src0_sel:DWORD src1_sel:WORD_1
	v_fma_f16 v19, v108, v19, v111
	v_pack_b32_f16 v19, v109, v19
	ds_write2_b32 v127, v105, v19 offset0:96 offset1:192
	s_waitcnt lgkmcnt(1)
	v_lshrrev_b32_e32 v19, 16, v106
	s_waitcnt vmcnt(4)
	v_mul_f16_sdwa v105, v19, v130 dst_sel:DWORD dst_unused:UNUSED_PAD src0_sel:DWORD src1_sel:WORD_1
	v_fma_f16 v105, v106, v130, -v105
	v_mul_f16_sdwa v106, v106, v130 dst_sel:DWORD dst_unused:UNUSED_PAD src0_sel:DWORD src1_sel:WORD_1
	v_fma_f16 v19, v19, v130, v106
	v_add_u32_e32 v111, 0x1200, v18
	v_pack_b32_f16 v19, v105, v19
	v_lshrrev_b32_e32 v105, 16, v107
	ds_read2_b32 v[108:109], v111 offset0:96 offset1:192
	s_waitcnt vmcnt(1)
	v_mul_f16_sdwa v106, v105, v133 dst_sel:DWORD dst_unused:UNUSED_PAD src0_sel:DWORD src1_sel:WORD_1
	v_fma_f16 v106, v107, v133, -v106
	v_mul_f16_sdwa v107, v107, v133 dst_sel:DWORD dst_unused:UNUSED_PAD src0_sel:DWORD src1_sel:WORD_1
	v_fma_f16 v105, v105, v133, v107
	v_pack_b32_f16 v105, v106, v105
	ds_write2_b32 v110, v19, v105 offset0:32 offset1:128
	s_waitcnt lgkmcnt(1)
	v_lshrrev_b32_e32 v19, 16, v108
	v_mul_f16_sdwa v105, v19, v131 dst_sel:DWORD dst_unused:UNUSED_PAD src0_sel:DWORD src1_sel:WORD_1
	v_mul_f16_sdwa v106, v108, v131 dst_sel:DWORD dst_unused:UNUSED_PAD src0_sel:DWORD src1_sel:WORD_1
	v_fma_f16 v105, v108, v131, -v105
	v_fma_f16 v19, v19, v131, v106
	v_pack_b32_f16 v19, v105, v19
	v_lshrrev_b32_e32 v105, 16, v109
	v_mul_f16_sdwa v106, v105, v132 dst_sel:DWORD dst_unused:UNUSED_PAD src0_sel:DWORD src1_sel:WORD_1
	v_add_u32_e32 v110, 0x1600, v18
	v_fma_f16 v108, v109, v132, -v106
	ds_read2_b32 v[106:107], v110 offset0:32 offset1:128
	v_mul_f16_sdwa v109, v109, v132 dst_sel:DWORD dst_unused:UNUSED_PAD src0_sel:DWORD src1_sel:WORD_1
	v_fma_f16 v105, v105, v132, v109
	v_pack_b32_f16 v105, v108, v105
	ds_write2_b32 v111, v19, v105 offset0:96 offset1:192
	s_waitcnt lgkmcnt(1)
	v_lshrrev_b32_e32 v19, 16, v106
	s_waitcnt vmcnt(0)
	v_mul_f16_sdwa v105, v19, v134 dst_sel:DWORD dst_unused:UNUSED_PAD src0_sel:DWORD src1_sel:WORD_1
	v_fma_f16 v105, v106, v134, -v105
	v_mul_f16_sdwa v106, v106, v134 dst_sel:DWORD dst_unused:UNUSED_PAD src0_sel:DWORD src1_sel:WORD_1
	v_fma_f16 v19, v19, v134, v106
	v_pack_b32_f16 v19, v105, v19
	v_lshrrev_b32_e32 v105, 16, v107
	v_mul_f16_sdwa v106, v105, v129 dst_sel:DWORD dst_unused:UNUSED_PAD src0_sel:DWORD src1_sel:WORD_1
	v_fma_f16 v106, v107, v129, -v106
	v_mul_f16_sdwa v107, v107, v129 dst_sel:DWORD dst_unused:UNUSED_PAD src0_sel:DWORD src1_sel:WORD_1
	v_fma_f16 v105, v105, v129, v107
	v_pack_b32_f16 v105, v106, v105
	ds_write2_b32 v110, v19, v105 offset0:32 offset1:128
.LBB0_13:
	s_or_b64 exec, exec, s[4:5]
	s_waitcnt lgkmcnt(0)
	s_barrier
	s_and_saveexec_b64 s[2:3], vcc
	s_cbranch_execz .LBB0_15
; %bb.14:
	v_add_u32_e32 v19, 0x200, v21
	ds_read2_b32 v[38:39], v19 offset0:64 offset1:160
	v_add_u32_e32 v19, 0x400, v21
	ds_read2_b32 v[36:37], v19 offset0:128 offset1:224
	;; [unrolled: 2-line block ×3, first 2 shown]
	v_add_u32_e32 v19, 0xc00, v21
	ds_read2_b32 v[42:43], v19 offset1:96
	v_add_u32_e32 v19, 0xe00, v21
	ds_read2_b32 v[46:47], v19 offset0:64 offset1:160
	v_add_u32_e32 v19, 0x1000, v21
	ds_read2_b32 v[44:45], v19 offset0:128 offset1:224
	v_add_u32_e32 v19, 0x1400, v21
	ds_read2_b32 v[34:35], v21 offset1:96
	ds_read2_b32 v[48:49], v19 offset0:64 offset1:160
	ds_read_b32 v88, v21 offset:6144
	s_waitcnt lgkmcnt(8)
	v_lshrrev_b32_e32 v93, 16, v38
	v_lshrrev_b32_e32 v94, 16, v39
	s_waitcnt lgkmcnt(2)
	v_lshrrev_b32_e32 v90, 16, v34
	v_lshrrev_b32_e32 v91, 16, v35
	;; [unrolled: 1-line block ×12, first 2 shown]
	s_waitcnt lgkmcnt(1)
	v_lshrrev_b32_e32 v102, 16, v48
	v_lshrrev_b32_e32 v104, 16, v49
	s_waitcnt lgkmcnt(0)
	v_lshrrev_b32_e32 v87, 16, v88
.LBB0_15:
	s_or_b64 exec, exec, s[2:3]
	v_sub_f16_e32 v175, v91, v87
	v_add_f16_e32 v110, v88, v35
	v_add_f16_e32 v116, v87, v91
	s_movk_i32 s4, 0x3b76
	v_mul_f16_e32 v106, 0xb5c8, v175
	v_sub_f16_e32 v176, v93, v104
	v_sub_f16_e32 v178, v35, v88
	s_mov_b32 s2, 0xb5c8
	v_mul_f16_e32 v108, 0x3b76, v116
	v_fma_f16 v19, v110, s4, -v106
	v_add_f16_e32 v113, v49, v38
	v_add_f16_e32 v120, v104, v93
	s_movk_i32 s5, 0x39e9
	v_mul_f16_e32 v107, 0xb964, v176
	v_add_f16_e32 v19, v34, v19
	v_fma_f16 v105, v178, s2, v108
	v_sub_f16_e32 v180, v38, v49
	s_mov_b32 s2, 0xb964
	v_mul_f16_e32 v111, 0x39e9, v120
	v_fma_f16 v109, v113, s5, -v107
	v_add_f16_e32 v105, v90, v105
	v_add_f16_e32 v19, v109, v19
	v_fma_f16 v109, v180, s2, v111
	v_sub_f16_e32 v177, v94, v102
	v_add_f16_e32 v105, v109, v105
	v_add_f16_e32 v117, v48, v39
	;; [unrolled: 1-line block ×3, first 2 shown]
	s_movk_i32 s6, 0x3722
	v_mul_f16_e32 v109, 0xbb29, v177
	v_sub_f16_e32 v182, v39, v48
	s_mov_b32 s2, 0xbb29
	v_mul_f16_e32 v114, 0x3722, v124
	v_fma_f16 v112, v117, s6, -v109
	v_add_f16_e32 v19, v112, v19
	v_fma_f16 v112, v182, s2, v114
	v_sub_f16_e32 v179, v89, v101
	v_add_f16_e32 v105, v112, v105
	v_add_f16_e32 v121, v45, v36
	;; [unrolled: 1-line block ×3, first 2 shown]
	s_movk_i32 s7, 0x2de8
	v_mul_f16_e32 v112, 0xbbf7, v179
	v_sub_f16_e32 v184, v36, v45
	s_mov_b32 s2, 0xbbf7
	v_mul_f16_e32 v118, 0x2de8, v129
	v_fma_f16 v115, v121, s7, -v112
	v_add_f16_e32 v19, v115, v19
	v_fma_f16 v115, v184, s2, v118
	v_sub_f16_e32 v181, v92, v100
	v_add_f16_e32 v105, v115, v105
	v_add_f16_e32 v125, v44, v37
	v_add_f16_e32 v132, v100, v92
	s_mov_b32 s16, 0xb461
	v_mul_f16_e32 v115, 0xbbb2, v181
	v_sub_f16_e32 v186, v37, v44
	s_mov_b32 s2, 0xbbb2
	v_mul_f16_e32 v122, 0xb461, v132
	v_fma_f16 v119, v125, s16, -v115
	v_add_f16_e32 v19, v119, v19
	v_fma_f16 v119, v186, s2, v122
	v_sub_f16_e32 v183, v95, v103
	v_add_f16_e32 v105, v119, v105
	v_add_f16_e32 v130, v47, v40
	v_add_f16_e32 v136, v103, v95
	s_mov_b32 s17, 0xb8d2
	;; [unrolled: 12-line block ×3, first 2 shown]
	v_mul_f16_e32 v123, 0xb836, v185
	v_sub_f16_e32 v189, v41, v46
	s_mov_b32 s2, 0xb836
	v_mul_f16_e32 v131, 0xbacd, v146
	v_fma_f16 v127, v133, s18, -v123
	v_sub_f16_e32 v187, v97, v98
	v_add_f16_e32 v19, v127, v19
	v_fma_f16 v127, v189, s2, v131
	v_add_f16_e32 v137, v43, v42
	v_add_f16_e32 v147, v98, v97
	s_mov_b32 s19, 0xbbdd
	v_mul_f16_e32 v128, 0xb1e1, v187
	v_add_f16_e32 v105, v127, v105
	v_sub_f16_e32 v190, v42, v43
	s_mov_b32 s2, 0xb1e1
	v_mul_f16_e32 v134, 0xbbdd, v147
	v_fma_f16 v127, v137, s19, -v128
	v_add_f16_e32 v19, v127, v19
	v_fma_f16 v127, v190, s2, v134
	v_add_f16_e32 v105, v127, v105
	s_barrier
	s_and_saveexec_b64 s[2:3], vcc
	s_cbranch_execz .LBB0_17
; %bb.16:
	v_accvgpr_write_b32 a7, v158
	v_mul_f16_e32 v158, 0xb964, v178
	v_fma_f16 v127, v116, s5, v158
	v_accvgpr_write_b32 a8, v159
	v_mul_f16_e32 v159, 0xbbf7, v180
	v_add_f16_e32 v127, v90, v127
	v_fma_f16 v135, v120, s7, v159
	v_accvgpr_write_b32 a9, v160
	v_mul_f16_e32 v160, 0xba62, v182
	v_mul_f16_e32 v17, 0x3b76, v110
	v_add_f16_e32 v127, v135, v127
	v_fma_f16 v135, v124, s17, v160
	v_accvgpr_write_b32 a10, v161
	v_mul_f16_e32 v161, 0xb1e1, v184
	v_accvgpr_write_b32 a19, v17
	v_mul_f16_e32 v17, 0x39e9, v113
	v_add_f16_e32 v127, v135, v127
	v_fma_f16 v135, v129, s19, v161
	v_accvgpr_write_b32 a12, v163
	v_mul_f16_e32 v163, 0x3836, v186
	v_accvgpr_write_b32 a20, v17
	;; [unrolled: 6-line block ×6, first 2 shown]
	v_add_f16_e32 v17, v135, v127
	v_fma_f16 v135, v110, s5, -v167
	v_mul_f16_e32 v168, 0xbbf7, v176
	v_add_f16_e32 v135, v34, v135
	v_fma_f16 v148, v113, s7, -v168
	v_mul_f16_e32 v169, 0xba62, v177
	v_add_f16_e32 v135, v148, v135
	v_fma_f16 v148, v117, s17, -v169
	v_mul_f16_e32 v170, 0xb1e1, v179
	v_add_f16_e32 v135, v148, v135
	v_fma_f16 v148, v121, s19, -v170
	v_mul_f16_e32 v171, 0x3836, v181
	v_add_f16_e32 v135, v148, v135
	v_fma_f16 v148, v125, s18, -v171
	v_mul_f16_e32 v172, 0x3bb2, v183
	v_add_f16_e32 v135, v148, v135
	v_fma_f16 v148, v130, s16, -v172
	v_mul_f16_e32 v173, 0x3b29, v185
	v_add_f16_e32 v135, v148, v135
	v_fma_f16 v148, v133, s6, -v173
	v_mul_f16_e32 v174, 0x35c8, v187
	v_add_f16_e32 v135, v148, v135
	v_fma_f16 v148, v137, s4, -v174
	v_mul_f16_e32 v191, 0xbb29, v178
	v_accvgpr_write_b32 a17, v17
	v_add_f16_e32 v17, v148, v135
	v_fma_f16 v148, v116, s6, v191
	v_mul_f16_e32 v192, 0xba62, v180
	v_add_f16_e32 v148, v90, v148
	v_accvgpr_write_b32 a6, v157
	v_fma_f16 v157, v120, s17, v192
	v_mul_f16_e32 v193, 0x31e1, v182
	v_add_f16_e32 v148, v157, v148
	v_fma_f16 v157, v124, s19, v193
	v_mul_f16_e32 v194, 0x3bb2, v184
	v_add_f16_e32 v148, v157, v148
	;; [unrolled: 3-line block ×7, first 2 shown]
	v_fma_f16 v157, v110, s6, -v199
	v_mul_f16_e32 v200, 0xba62, v176
	v_add_f16_e32 v157, v34, v157
	v_accvgpr_write_b32 a11, v162
	v_fma_f16 v162, v113, s17, -v200
	v_mul_f16_e32 v201, 0x31e1, v177
	v_add_f16_e32 v157, v162, v157
	v_fma_f16 v162, v117, s19, -v201
	v_mul_f16_e32 v202, 0x3bb2, v179
	v_add_f16_e32 v157, v162, v157
	v_fma_f16 v162, v121, s16, -v202
	v_mul_f16_e32 v203, 0x3964, v181
	v_add_f16_e32 v157, v162, v157
	v_fma_f16 v162, v125, s5, -v203
	v_mul_f16_e32 v204, 0xb5c8, v183
	v_add_f16_e32 v157, v162, v157
	v_fma_f16 v162, v130, s4, -v204
	v_mul_f16_e32 v205, 0xbbf7, v185
	v_add_f16_e32 v157, v162, v157
	v_fma_f16 v162, v133, s7, -v205
	v_mul_f16_e32 v206, 0xb836, v187
	v_add_f16_e32 v157, v162, v157
	v_fma_f16 v162, v137, s18, -v206
	v_mul_f16_e32 v207, 0xbbf7, v178
	v_add_f16_e32 v157, v162, v157
	v_fma_f16 v162, v116, s7, v207
	v_mul_f16_e32 v208, 0xb1e1, v180
	v_add_f16_e32 v162, v90, v162
	v_fma_f16 v209, v120, s19, v208
	v_add_f16_e32 v162, v209, v162
	v_mul_f16_e32 v209, 0x3bb2, v182
	v_fma_f16 v210, v124, s16, v209
	v_add_f16_e32 v162, v210, v162
	v_mul_f16_e32 v210, 0x35c8, v184
	v_fma_f16 v211, v129, s4, v210
	v_add_f16_e32 v162, v211, v162
	v_mul_f16_e32 v211, 0xbb29, v186
	v_fma_f16 v212, v132, s6, v211
	v_add_f16_e32 v162, v212, v162
	v_mul_f16_e32 v212, 0xb836, v188
	v_fma_f16 v213, v136, s18, v212
	v_add_f16_e32 v162, v213, v162
	v_mul_f16_e32 v213, 0x3a62, v189
	v_fma_f16 v214, v146, s17, v213
	v_add_f16_e32 v162, v214, v162
	v_mul_f16_e32 v214, 0x3964, v190
	v_fma_f16 v215, v147, s5, v214
	v_add_f16_e32 v162, v215, v162
	v_mul_f16_e32 v215, 0xbbf7, v175
	v_fma_f16 v216, v110, s7, -v215
	v_mul_f16_e32 v217, 0xb1e1, v176
	v_add_f16_e32 v216, v34, v216
	v_fma_f16 v218, v113, s19, -v217
	v_add_f16_e32 v216, v218, v216
	v_mul_f16_e32 v218, 0x3bb2, v177
	v_fma_f16 v219, v117, s16, -v218
	v_add_f16_e32 v216, v219, v216
	v_mul_f16_e32 v219, 0x35c8, v179
	v_fma_f16 v220, v121, s4, -v219
	v_add_f16_e32 v216, v220, v216
	v_mul_f16_e32 v220, 0xbb29, v181
	v_fma_f16 v221, v125, s6, -v220
	v_add_f16_e32 v216, v221, v216
	v_mul_f16_e32 v221, 0xb836, v183
	v_fma_f16 v222, v130, s18, -v221
	v_add_f16_e32 v216, v222, v216
	v_mul_f16_e32 v222, 0x3a62, v185
	v_fma_f16 v223, v133, s17, -v222
	v_add_f16_e32 v216, v223, v216
	v_mul_f16_e32 v223, 0x3964, v187
	v_fma_f16 v224, v137, s5, -v223
	v_add_f16_e32 v216, v224, v216
	v_mul_f16_e32 v224, 0xbbb2, v178
	v_fma_f16 v225, v116, s16, v224
	v_mul_f16_e32 v226, 0x3836, v180
	v_add_f16_e32 v225, v90, v225
	v_fma_f16 v227, v120, s18, v226
	v_add_f16_e32 v225, v227, v225
	v_mul_f16_e32 v227, 0x3964, v182
	v_fma_f16 v228, v124, s5, v227
	v_add_f16_e32 v225, v228, v225
	v_mul_f16_e32 v228, 0xbb29, v184
	v_fma_f16 v229, v129, s6, v228
	v_add_f16_e32 v225, v229, v225
	v_mul_f16_e32 v229, 0xb1e1, v186
	v_fma_f16 v230, v132, s19, v229
	v_add_f16_e32 v225, v230, v225
	v_mul_f16_e32 v230, 0x3bf7, v188
	v_fma_f16 v231, v136, s7, v230
	v_add_f16_e32 v225, v231, v225
	v_mul_f16_e32 v231, 0xb5c8, v189
	v_fma_f16 v232, v146, s4, v231
	v_add_f16_e32 v225, v232, v225
	v_mul_f16_e32 v232, 0xba62, v190
	v_fma_f16 v233, v147, s17, v232
	v_add_f16_e32 v225, v233, v225
	v_mul_f16_e32 v233, 0xbbb2, v175
	v_fma_f16 v234, v110, s16, -v233
	v_mul_f16_e32 v235, 0x3836, v176
	v_add_f16_e32 v234, v34, v234
	v_fma_f16 v236, v113, s18, -v235
	v_add_f16_e32 v234, v236, v234
	v_mul_f16_e32 v236, 0x3964, v177
	v_fma_f16 v237, v117, s5, -v236
	v_add_f16_e32 v234, v237, v234
	v_mul_f16_e32 v237, 0xbb29, v179
	v_fma_f16 v238, v121, s6, -v237
	v_add_f16_e32 v234, v238, v234
	v_mul_f16_e32 v238, 0xb1e1, v181
	v_fma_f16 v239, v125, s19, -v238
	v_add_f16_e32 v234, v239, v234
	v_mul_f16_e32 v239, 0x3bf7, v183
	v_fma_f16 v240, v130, s7, -v239
	v_add_f16_e32 v234, v240, v234
	v_mul_f16_e32 v240, 0xb5c8, v185
	v_fma_f16 v241, v133, s4, -v240
	v_add_f16_e32 v234, v241, v234
	v_mul_f16_e32 v241, 0xba62, v187
	v_fma_f16 v242, v137, s17, -v241
	v_add_f16_e32 v234, v242, v234
	v_mul_f16_e32 v242, 0xba62, v178
	v_fma_f16 v243, v116, s17, v242
	v_mul_f16_e32 v244, 0x3bb2, v180
	v_add_f16_e32 v243, v90, v243
	v_fma_f16 v245, v120, s16, v244
	v_add_f16_e32 v243, v245, v243
	v_mul_f16_e32 v245, 0xb5c8, v182
	v_fma_f16 v246, v124, s4, v245
	v_add_f16_e32 v243, v246, v243
	v_mul_f16_e32 v246, 0xb836, v184
	v_fma_f16 v247, v129, s18, v246
	v_add_f16_e32 v243, v247, v243
	v_mul_f16_e32 v247, 0x3bf7, v186
	v_fma_f16 v248, v132, s7, v247
	v_add_f16_e32 v243, v248, v243
	v_mul_f16_e32 v248, 0xb964, v188
	v_fma_f16 v249, v136, s5, v248
	v_add_f16_e32 v243, v249, v243
	v_mul_f16_e32 v249, 0xb1e1, v189
	v_fma_f16 v250, v146, s19, v249
	v_add_f16_e32 v243, v250, v243
	v_mul_f16_e32 v250, 0x3b29, v190
	v_fma_f16 v251, v147, s6, v250
	v_add_f16_e32 v243, v251, v243
	v_mul_f16_e32 v251, 0xba62, v175
	v_fma_f16 v252, v110, s17, -v251
	v_mul_f16_e32 v253, 0x3bb2, v176
	v_add_f16_e32 v252, v34, v252
	v_fma_f16 v254, v113, s16, -v253
	v_add_f16_e32 v252, v254, v252
	v_mul_f16_e32 v254, 0xb5c8, v177
	v_fma_f16 v255, v117, s4, -v254
	v_add_f16_e32 v252, v255, v252
	v_mul_f16_e32 v255, 0xb836, v179
	v_fma_f16 v58, v121, s18, -v255
	v_add_f16_e32 v58, v58, v252
	v_mul_f16_e32 v252, 0x3bf7, v181
	v_fma_f16 v59, v125, s7, -v252
	v_add_f16_e32 v58, v59, v58
	v_mul_f16_e32 v59, 0xb964, v183
	v_fma_f16 v60, v130, s5, -v59
	v_add_f16_e32 v58, v60, v58
	v_mul_f16_e32 v60, 0xb1e1, v185
	v_fma_f16 v61, v133, s19, -v60
	v_add_f16_e32 v58, v61, v58
	v_mul_f16_e32 v61, 0x3b29, v187
	v_fma_f16 v62, v137, s6, -v61
	v_add_f16_e32 v58, v62, v58
	v_mul_f16_e32 v62, 0xb836, v178
	v_fma_f16 v63, v116, s18, v62
	v_mul_f16_e32 v64, 0x3b29, v180
	v_add_f16_e32 v63, v90, v63
	v_fma_f16 v65, v120, s6, v64
	v_add_f16_e32 v63, v65, v63
	v_mul_f16_e32 v65, 0xbbf7, v182
	v_fma_f16 v74, v124, s7, v65
	v_add_f16_e32 v63, v74, v63
	v_mul_f16_e32 v74, 0x3a62, v184
	;; [unrolled: 3-line block ×6, first 2 shown]
	v_fma_f16 v79, v147, s16, v78
	v_fma_f16 v62, v116, s18, -v62
	v_add_f16_e32 v63, v79, v63
	v_mul_f16_e32 v79, 0xb836, v175
	v_add_f16_e32 v62, v90, v62
	v_fma_f16 v64, v120, s6, -v64
	v_fma_f16 v80, v110, s18, -v79
	v_mul_f16_e32 v81, 0x3b29, v176
	v_add_f16_e32 v62, v64, v62
	v_fma_f16 v64, v124, s7, -v65
	v_accvgpr_write_b32 a18, v17
	v_add_f16_e32 v80, v34, v80
	v_fma_f16 v17, v113, s6, -v81
	v_add_f16_e32 v62, v64, v62
	v_fma_f16 v64, v129, s17, -v74
	v_add_f16_e32 v17, v17, v80
	v_mul_f16_e32 v80, 0xbbf7, v177
	v_add_f16_e32 v62, v64, v62
	v_fma_f16 v64, v132, s4, -v75
	v_fma_f16 v127, v117, s7, -v80
	v_add_f16_e32 v62, v64, v62
	v_fma_f16 v64, v136, s19, -v76
	v_add_f16_e32 v17, v127, v17
	v_mul_f16_e32 v127, 0x3a62, v179
	v_add_f16_e32 v62, v64, v62
	v_fma_f16 v64, v146, s5, -v77
	v_fma_f16 v135, v121, s17, -v127
	v_add_f16_e32 v62, v64, v62
	v_fma_f16 v64, v147, s16, -v78
	v_add_f16_e32 v17, v135, v17
	v_mul_f16_e32 v135, 0xb5c8, v181
	v_add_f16_e32 v62, v64, v62
	v_fma_f16 v64, v110, s18, v79
	v_fma_f16 v138, v125, s4, -v135
	v_add_f16_e32 v64, v34, v64
	v_fma_f16 v65, v113, s6, v81
	v_add_f16_e32 v17, v138, v17
	v_mul_f16_e32 v138, 0xb1e1, v183
	v_add_f16_e32 v64, v65, v64
	v_fma_f16 v65, v117, s7, v80
	v_fma_f16 v139, v130, s19, -v138
	v_add_f16_e32 v64, v65, v64
	v_fma_f16 v65, v121, s17, v127
	;; [unrolled: 7-line block ×3, first 2 shown]
	v_add_f16_e32 v17, v140, v17
	v_mul_f16_e32 v140, 0xbbb2, v187
	v_add_f16_e32 v64, v65, v64
	v_fma_f16 v65, v133, s5, v139
	v_add_f16_e32 v64, v65, v64
	v_fma_f16 v65, v137, s16, v140
	v_add_f16_e32 v64, v65, v64
	v_fma_f16 v65, v116, s17, -v242
	v_add_f16_e32 v65, v90, v65
	v_fma_f16 v74, v120, s16, -v244
	v_add_f16_e32 v65, v74, v65
	v_fma_f16 v74, v124, s4, -v245
	v_add_f16_e32 v65, v74, v65
	v_fma_f16 v74, v129, s18, -v246
	v_add_f16_e32 v65, v74, v65
	v_fma_f16 v74, v132, s7, -v247
	v_add_f16_e32 v65, v74, v65
	v_fma_f16 v74, v136, s5, -v248
	v_add_f16_e32 v65, v74, v65
	v_fma_f16 v74, v146, s19, -v249
	v_add_f16_e32 v65, v74, v65
	v_fma_f16 v74, v147, s6, -v250
	v_add_f16_e32 v65, v74, v65
	v_fma_f16 v74, v110, s17, v251
	v_add_f16_e32 v74, v34, v74
	v_fma_f16 v75, v113, s16, v253
	v_add_f16_e32 v74, v75, v74
	v_fma_f16 v75, v117, s4, v254
	v_add_f16_e32 v74, v75, v74
	v_fma_f16 v75, v121, s18, v255
	v_add_f16_e32 v74, v75, v74
	v_fma_f16 v75, v125, s7, v252
	v_add_f16_e32 v74, v75, v74
	v_fma_f16 v59, v130, s5, v59
	v_add_f16_e32 v59, v59, v74
	v_fma_f16 v60, v133, s19, v60
	v_add_f16_e32 v59, v60, v59
	v_fma_f16 v60, v137, s6, v61
	v_add_f16_e32 v59, v60, v59
	v_fma_f16 v60, v116, s16, -v224
	v_add_f16_e32 v60, v90, v60
	v_fma_f16 v61, v120, s18, -v226
	v_add_f16_e32 v60, v61, v60
	v_fma_f16 v61, v124, s5, -v227
	v_add_f16_e32 v60, v61, v60
	v_fma_f16 v61, v129, s6, -v228
	v_add_f16_e32 v60, v61, v60
	v_fma_f16 v61, v132, s19, -v229
	v_add_f16_e32 v60, v61, v60
	v_fma_f16 v61, v136, s7, -v230
	v_add_f16_e32 v60, v61, v60
	v_fma_f16 v61, v146, s4, -v231
	v_add_f16_e32 v60, v61, v60
	v_fma_f16 v61, v147, s17, -v232
	v_add_f16_e32 v60, v61, v60
	v_fma_f16 v61, v110, s16, v233
	v_add_f16_e32 v61, v34, v61
	v_fma_f16 v74, v113, s18, v235
	v_add_f16_e32 v61, v74, v61
	v_fma_f16 v74, v117, s5, v236
	v_add_f16_e32 v61, v74, v61
	v_fma_f16 v74, v121, s6, v237
	v_add_f16_e32 v61, v74, v61
	v_fma_f16 v74, v125, s19, v238
	v_add_f16_e32 v61, v74, v61
	v_fma_f16 v74, v130, s7, v239
	;; [unrolled: 32-line block ×4, first 2 shown]
	v_add_f16_e32 v77, v78, v77
	v_fma_f16 v78, v133, s7, v205
	v_add_f16_e32 v77, v78, v77
	v_fma_f16 v78, v137, s18, v206
	v_add_f16_e32 v77, v78, v77
	v_fma_f16 v78, v116, s5, -v158
	v_add_f16_e32 v78, v90, v78
	v_fma_f16 v79, v120, s7, -v159
	;; [unrolled: 2-line block ×8, first 2 shown]
	v_add_f16_e32 v78, v79, v78
	v_fma_f16 v79, v110, s5, v167
	v_fma_f16 v141, v137, s16, -v140
	v_add_f16_e32 v79, v34, v79
	v_fma_f16 v80, v113, s7, v168
	v_add_f16_e32 v17, v141, v17
	v_mul_f16_e32 v141, 0xb1e1, v178
	v_add_f16_e32 v79, v80, v79
	v_fma_f16 v80, v117, s17, v169
	v_mul_f16_e32 v149, 0xb5c8, v178
	v_mul_f16_e32 v150, 0xb964, v180
	v_fma_f16 v178, v116, s19, v141
	v_mul_f16_e32 v180, 0x35c8, v180
	v_add_f16_e32 v79, v80, v79
	v_fma_f16 v80, v121, s19, v170
	v_add_f16_e32 v178, v90, v178
	v_fma_f16 v142, v120, s4, v180
	;; [unrolled: 2-line block ×3, first 2 shown]
	v_add_f16_e32 v142, v142, v178
	v_mul_f16_e32 v178, 0xb836, v182
	v_add_f16_e32 v79, v80, v79
	v_fma_f16 v80, v130, s16, v172
	v_accvgpr_write_b32 a0, v151
	v_mul_f16_e32 v151, 0xbb29, v182
	v_fma_f16 v182, v124, s18, v178
	v_add_f16_e32 v79, v80, v79
	v_fma_f16 v80, v133, s6, v173
	v_add_f16_e32 v142, v182, v142
	v_mul_f16_e32 v182, 0x3964, v184
	v_add_f16_e32 v79, v80, v79
	v_fma_f16 v80, v137, s4, v174
	v_accvgpr_write_b32 a1, v152
	v_mul_f16_e32 v152, 0xbbf7, v184
	v_fma_f16 v184, v129, s5, v182
	v_add_f16_e32 v79, v80, v79
	v_sub_f16_e32 v80, v108, v149
	v_add_f16_e32 v142, v184, v142
	v_mul_f16_e32 v184, 0xba62, v186
	v_add_f16_e32 v80, v90, v80
	v_sub_f16_e32 v81, v111, v150
	v_accvgpr_write_b32 a2, v153
	v_mul_f16_e32 v153, 0xbbb2, v186
	v_fma_f16 v186, v132, s17, v184
	v_add_f16_e32 v80, v81, v80
	v_sub_f16_e32 v81, v114, v151
	v_add_f16_e32 v142, v186, v142
	v_mul_f16_e32 v186, 0x3b29, v188
	v_add_f16_e32 v80, v81, v80
	v_sub_f16_e32 v81, v118, v152
	v_accvgpr_write_b32 a3, v154
	v_mul_f16_e32 v154, 0xba62, v188
	v_fma_f16 v188, v136, s6, v186
	v_add_f16_e32 v80, v81, v80
	v_sub_f16_e32 v81, v122, v153
	v_accvgpr_write_b32 a4, v155
	v_mul_f16_e32 v155, 0xb836, v189
	v_add_f16_e32 v142, v188, v142
	v_mul_f16_e32 v188, 0xbbb2, v189
	v_add_f16_e32 v80, v81, v80
	v_sub_f16_e32 v81, v126, v154
	v_accvgpr_write_b32 a5, v156
	v_mul_f16_e32 v156, 0xb1e1, v190
	v_fma_f16 v189, v146, s16, v188
	v_add_f16_e32 v80, v81, v80
	v_sub_f16_e32 v81, v131, v155
	v_add_f16_e32 v142, v189, v142
	v_mul_f16_e32 v189, 0x3bf7, v190
	v_add_f16_e32 v80, v81, v80
	v_sub_f16_e32 v81, v134, v156
	v_fma_f16 v190, v147, s7, v189
	v_mul_f16_e32 v175, 0xb1e1, v175
	v_add_f16_e32 v80, v81, v80
	v_accvgpr_read_b32 v81, a19
	v_add_f16_e32 v142, v190, v142
	v_fma_f16 v190, v110, s19, -v175
	v_fma_f16 v175, v110, s19, v175
	v_add_f16_e32 v81, v81, v106
	v_add_f16_e32 v190, v34, v190
	;; [unrolled: 1-line block ×10, first 2 shown]
	v_accvgpr_read_b32 v106, a20
	v_add_f16_e32 v34, v36, v34
	v_add_f16_e32 v35, v89, v35
	v_add_f16_e32 v106, v106, v107
	v_add_f16_e32 v34, v37, v34
	v_add_f16_e32 v35, v92, v35
	v_add_f16_e32 v81, v106, v81
	v_accvgpr_read_b32 v106, a21
	v_add_f16_e32 v34, v40, v34
	v_add_f16_e32 v35, v95, v35
	v_add_f16_e32 v106, v106, v109
	v_add_f16_e32 v34, v41, v34
	v_add_f16_e32 v35, v96, v35
	v_add_f16_e32 v81, v106, v81
	;; [unrolled: 7-line block ×3, first 2 shown]
	v_accvgpr_read_b32 v106, a23
	v_add_f16_e32 v34, v46, v34
	v_add_f16_e32 v35, v99, v35
	;; [unrolled: 1-line block ×5, first 2 shown]
	v_mul_f16_e32 v176, 0x35c8, v176
	v_fma_f16 v141, v116, s19, -v141
	v_add_f16_e32 v81, v106, v81
	v_accvgpr_read_b32 v106, a24
	v_add_f16_e32 v34, v44, v34
	v_add_f16_e32 v35, v100, v35
	v_mul_f16_e32 v144, 0xbacd, v133
	v_fma_f16 v143, v113, s4, -v176
	v_mul_f16_e32 v177, 0xb836, v177
	v_add_f16_e32 v141, v90, v141
	v_fma_f16 v180, v120, s4, -v180
	v_fma_f16 v176, v113, s4, v176
	v_add_f16_e32 v106, v106, v119
	v_add_f16_e32 v34, v45, v34
	;; [unrolled: 1-line block ×3, first 2 shown]
	v_mul_f16_e32 v145, 0xbbdd, v137
	v_add_f16_e32 v143, v143, v190
	v_fma_f16 v190, v117, s18, -v177
	v_mul_f16_e32 v179, 0x3964, v179
	v_add_f16_e32 v141, v180, v141
	v_fma_f16 v178, v124, s18, -v178
	v_add_f16_e32 v175, v176, v175
	v_fma_f16 v176, v117, s18, v177
	v_add_f16_e32 v81, v106, v81
	v_add_f16_e32 v106, v144, v123
	;; [unrolled: 1-line block ×5, first 2 shown]
	v_fma_f16 v190, v121, s5, -v179
	v_mul_f16_e32 v181, 0xba62, v181
	v_add_f16_e32 v141, v178, v141
	v_fma_f16 v178, v129, s5, -v182
	v_add_f16_e32 v175, v176, v175
	v_fma_f16 v176, v121, s5, v179
	v_add_f16_e32 v81, v106, v81
	v_add_f16_e32 v106, v145, v128
	;; [unrolled: 1-line block ×5, first 2 shown]
	v_fma_f16 v190, v125, s17, -v181
	v_mul_f16_e32 v183, 0x3b29, v183
	v_add_f16_e32 v141, v178, v141
	v_fma_f16 v178, v132, s17, -v184
	v_add_f16_e32 v175, v176, v175
	v_fma_f16 v176, v125, s17, v181
	v_add_f16_e32 v81, v106, v81
	v_add_f16_e32 v34, v88, v34
	;; [unrolled: 1-line block ×3, first 2 shown]
	v_mul_lo_u16_e32 v36, 17, v16
	v_add_f16_e32 v143, v190, v143
	v_fma_f16 v190, v130, s6, -v183
	v_mul_f16_e32 v185, 0xbbb2, v185
	v_add_f16_e32 v141, v178, v141
	v_fma_f16 v178, v136, s6, -v186
	v_add_f16_e32 v175, v176, v175
	v_fma_f16 v176, v130, s6, v183
	v_lshlrev_b32_e32 v36, 2, v36
	v_pack_b32_f16 v37, v81, v80
	v_pack_b32_f16 v34, v34, v35
	v_add_f16_e32 v143, v190, v143
	v_fma_f16 v190, v133, s16, -v185
	v_mul_f16_e32 v187, 0x3bf7, v187
	v_add_f16_e32 v141, v178, v141
	v_fma_f16 v178, v146, s16, -v188
	v_add_f16_e32 v175, v176, v175
	v_fma_f16 v176, v133, s16, v185
	ds_write2_b32 v36, v34, v37 offset1:1
	v_pack_b32_f16 v34, v77, v76
	v_pack_b32_f16 v35, v79, v78
	v_add_f16_e32 v143, v190, v143
	v_fma_f16 v190, v137, s7, -v187
	v_add_f16_e32 v141, v178, v141
	v_fma_f16 v178, v147, s7, -v189
	v_add_f16_e32 v175, v176, v175
	v_fma_f16 v176, v137, s7, v187
	ds_write2_b32 v36, v35, v34 offset0:2 offset1:3
	v_pack_b32_f16 v34, v61, v60
	v_pack_b32_f16 v35, v75, v74
	v_add_f16_e32 v143, v190, v143
	v_add_f16_e32 v141, v178, v141
	;; [unrolled: 1-line block ×3, first 2 shown]
	ds_write2_b32 v36, v35, v34 offset0:4 offset1:5
	v_pack_b32_f16 v34, v64, v62
	v_pack_b32_f16 v35, v59, v65
	ds_write2_b32 v36, v35, v34 offset0:6 offset1:7
	v_pack_b32_f16 v34, v143, v142
	v_pack_b32_f16 v35, v175, v141
	;; [unrolled: 3-line block ×4, first 2 shown]
	ds_write2_b32 v36, v34, v17 offset0:12 offset1:13
	v_accvgpr_read_b32 v17, a17
	v_accvgpr_read_b32 v34, a18
	v_pack_b32_f16 v17, v34, v17
	v_pack_b32_f16 v34, v157, v148
	s_mov_b32 s4, 0x5040100
	v_accvgpr_read_b32 v158, a7
	v_accvgpr_read_b32 v159, a8
	;; [unrolled: 1-line block ×17, first 2 shown]
	ds_write2_b32 v36, v34, v17 offset0:14 offset1:15
	v_perm_b32 v17, v105, v19, s4
	ds_write_b32 v36, v17 offset:64
.LBB0_17:
	s_or_b64 exec, exec, s[2:3]
	v_add_u32_e32 v17, 0xc00, v21
	s_waitcnt lgkmcnt(0)
	s_barrier
	ds_read2_b32 v[36:37], v17 offset0:48 offset1:150
	v_add_u32_e32 v62, 0xe00, v21
	ds_read2_b32 v[40:41], v62 offset0:124 offset1:226
	v_add_u32_e32 v78, 0x1200, v21
	ds_read2_b32 v[44:45], v78 offset0:72 offset1:174
	s_waitcnt lgkmcnt(2)
	v_lshrrev_b32_e32 v59, 16, v36
	v_mul_f16_sdwa v93, v50, v59 dst_sel:DWORD dst_unused:UNUSED_PAD src0_sel:WORD_1 src1_sel:DWORD
	v_lshrrev_b32_e32 v63, 16, v37
	v_fma_f16 v93, v50, v36, v93
	v_mul_f16_sdwa v36, v50, v36 dst_sel:DWORD dst_unused:UNUSED_PAD src0_sel:WORD_1 src1_sel:DWORD
	v_fma_f16 v36, v50, v59, -v36
	v_mul_f16_sdwa v50, v51, v63 dst_sel:DWORD dst_unused:UNUSED_PAD src0_sel:WORD_1 src1_sel:DWORD
	s_waitcnt lgkmcnt(1)
	v_lshrrev_b32_e32 v74, 16, v40
	v_fma_f16 v50, v51, v37, v50
	v_mul_f16_sdwa v37, v51, v37 dst_sel:DWORD dst_unused:UNUSED_PAD src0_sel:WORD_1 src1_sel:DWORD
	v_fma_f16 v37, v51, v63, -v37
	v_mul_f16_sdwa v51, v52, v74 dst_sel:DWORD dst_unused:UNUSED_PAD src0_sel:WORD_1 src1_sel:DWORD
	v_lshrrev_b32_e32 v76, 16, v41
	v_add_u32_e32 v80, 0x1400, v21
	v_fma_f16 v51, v52, v40, v51
	v_mul_f16_sdwa v40, v52, v40 dst_sel:DWORD dst_unused:UNUSED_PAD src0_sel:WORD_1 src1_sel:DWORD
	ds_read2_b32 v[48:49], v80 offset0:148 offset1:250
	v_fma_f16 v40, v52, v74, -v40
	v_mul_f16_sdwa v52, v53, v76 dst_sel:DWORD dst_unused:UNUSED_PAD src0_sel:WORD_1 src1_sel:DWORD
	s_waitcnt lgkmcnt(1)
	v_lshrrev_b32_e32 v81, 16, v44
	v_fma_f16 v52, v53, v41, v52
	v_mul_f16_sdwa v41, v53, v41 dst_sel:DWORD dst_unused:UNUSED_PAD src0_sel:WORD_1 src1_sel:DWORD
	v_fma_f16 v41, v53, v76, -v41
	v_mul_f16_sdwa v53, v54, v81 dst_sel:DWORD dst_unused:UNUSED_PAD src0_sel:WORD_1 src1_sel:DWORD
	v_lshrrev_b32_e32 v88, 16, v45
	v_fma_f16 v53, v54, v44, v53
	v_mul_f16_sdwa v44, v54, v44 dst_sel:DWORD dst_unused:UNUSED_PAD src0_sel:WORD_1 src1_sel:DWORD
	ds_read2_b32 v[34:35], v21 offset1:102
	v_fma_f16 v44, v54, v81, -v44
	v_mul_f16_sdwa v54, v55, v88 dst_sel:DWORD dst_unused:UNUSED_PAD src0_sel:WORD_1 src1_sel:DWORD
	v_add_u32_e32 v61, 0x200, v21
	s_waitcnt lgkmcnt(1)
	v_lshrrev_b32_e32 v90, 16, v48
	v_fma_f16 v54, v55, v45, v54
	v_mul_f16_sdwa v45, v55, v45 dst_sel:DWORD dst_unused:UNUSED_PAD src0_sel:WORD_1 src1_sel:DWORD
	ds_read2_b32 v[38:39], v61 offset0:76 offset1:178
	v_fma_f16 v45, v55, v88, -v45
	v_mul_f16_sdwa v55, v56, v90 dst_sel:DWORD dst_unused:UNUSED_PAD src0_sel:WORD_1 src1_sel:DWORD
	v_add_u32_e32 v64, 0x400, v21
	v_lshrrev_b32_e32 v92, 16, v49
	v_fma_f16 v55, v56, v48, v55
	v_mul_f16_sdwa v48, v56, v48 dst_sel:DWORD dst_unused:UNUSED_PAD src0_sel:WORD_1 src1_sel:DWORD
	ds_read2_b32 v[42:43], v64 offset0:152 offset1:254
	v_fma_f16 v48, v56, v90, -v48
	v_mul_f16_sdwa v56, v57, v92 dst_sel:DWORD dst_unused:UNUSED_PAD src0_sel:WORD_1 src1_sel:DWORD
	s_waitcnt lgkmcnt(2)
	v_lshrrev_b32_e32 v58, 16, v34
	v_add_u32_e32 v79, 0x800, v21
	v_fma_f16 v56, v57, v49, v56
	v_mul_f16_sdwa v49, v57, v49 dst_sel:DWORD dst_unused:UNUSED_PAD src0_sel:WORD_1 src1_sel:DWORD
	v_lshrrev_b32_e32 v60, 16, v35
	ds_read2_b32 v[46:47], v79 offset0:100 offset1:202
	v_fma_f16 v49, v57, v92, -v49
	v_sub_f16_e32 v57, v34, v93
	v_sub_f16_e32 v36, v58, v36
	s_waitcnt lgkmcnt(2)
	v_lshrrev_b32_e32 v65, 16, v38
	v_fma_f16 v34, v34, 2.0, -v57
	v_fma_f16 v58, v58, 2.0, -v36
	v_sub_f16_e32 v50, v35, v50
	v_sub_f16_e32 v37, v60, v37
	v_lshrrev_b32_e32 v75, 16, v39
	v_fma_f16 v35, v35, 2.0, -v50
	v_fma_f16 v59, v60, 2.0, -v37
	v_sub_f16_e32 v51, v38, v51
	v_sub_f16_e32 v40, v65, v40
	v_pack_b32_f16 v34, v34, v58
	v_pack_b32_f16 v36, v57, v36
	s_waitcnt lgkmcnt(1)
	v_lshrrev_b32_e32 v77, 16, v42
	v_fma_f16 v38, v38, 2.0, -v51
	v_fma_f16 v60, v65, 2.0, -v40
	v_sub_f16_e32 v52, v39, v52
	v_sub_f16_e32 v41, v75, v41
	s_waitcnt lgkmcnt(0)
	s_barrier
	ds_write2_b32 v151, v34, v36 offset1:17
	v_pack_b32_f16 v34, v35, v59
	v_pack_b32_f16 v35, v50, v37
	v_lshrrev_b32_e32 v87, 16, v43
	v_fma_f16 v39, v39, 2.0, -v52
	v_fma_f16 v63, v75, 2.0, -v41
	v_sub_f16_e32 v53, v42, v53
	v_sub_f16_e32 v44, v77, v44
	ds_write2_b32 v152, v34, v35 offset1:17
	v_pack_b32_f16 v34, v38, v60
	v_pack_b32_f16 v35, v51, v40
	v_lshrrev_b32_e32 v89, 16, v46
	v_fma_f16 v42, v42, 2.0, -v53
	v_fma_f16 v65, v77, 2.0, -v44
	v_sub_f16_e32 v54, v43, v54
	v_sub_f16_e32 v45, v87, v45
	ds_write2_b32 v153, v34, v35 offset1:17
	v_pack_b32_f16 v34, v39, v63
	v_pack_b32_f16 v35, v52, v41
	v_lshrrev_b32_e32 v91, 16, v47
	v_fma_f16 v43, v43, 2.0, -v54
	v_fma_f16 v74, v87, 2.0, -v45
	v_sub_f16_e32 v55, v46, v55
	v_sub_f16_e32 v48, v89, v48
	ds_write2_b32 v154, v34, v35 offset1:17
	v_pack_b32_f16 v34, v42, v65
	v_pack_b32_f16 v35, v53, v44
	v_fma_f16 v46, v46, 2.0, -v55
	v_fma_f16 v75, v89, 2.0, -v48
	v_sub_f16_e32 v56, v47, v56
	v_sub_f16_e32 v49, v91, v49
	ds_write2_b32 v155, v34, v35 offset1:17
	v_pack_b32_f16 v34, v43, v74
	v_pack_b32_f16 v35, v54, v45
	v_fma_f16 v47, v47, 2.0, -v56
	v_fma_f16 v76, v91, 2.0, -v49
	ds_write2_b32 v156, v34, v35 offset1:17
	v_pack_b32_f16 v34, v46, v75
	v_pack_b32_f16 v35, v55, v48
	ds_write2_b32 v157, v34, v35 offset1:17
	v_pack_b32_f16 v34, v47, v76
	v_pack_b32_f16 v35, v56, v49
	ds_write2_b32 v158, v34, v35 offset1:17
	s_waitcnt lgkmcnt(0)
	s_barrier
	ds_read2_b32 v[34:35], v21 offset1:102
	ds_read2_b32 v[36:37], v17 offset0:48 offset1:150
	ds_read2_b32 v[40:41], v62 offset0:124 offset1:226
	;; [unrolled: 1-line block ×5, first 2 shown]
	s_waitcnt lgkmcnt(4)
	v_lshrrev_b32_e32 v51, 16, v36
	v_mul_f16_sdwa v75, v66, v51 dst_sel:DWORD dst_unused:UNUSED_PAD src0_sel:WORD_1 src1_sel:DWORD
	v_lshrrev_b32_e32 v53, 16, v37
	v_fma_f16 v75, v66, v36, v75
	v_mul_f16_sdwa v36, v66, v36 dst_sel:DWORD dst_unused:UNUSED_PAD src0_sel:WORD_1 src1_sel:DWORD
	v_fma_f16 v36, v66, v51, -v36
	v_mul_f16_sdwa v51, v67, v53 dst_sel:DWORD dst_unused:UNUSED_PAD src0_sel:WORD_1 src1_sel:DWORD
	s_waitcnt lgkmcnt(3)
	v_lshrrev_b32_e32 v55, 16, v40
	v_fma_f16 v51, v67, v37, v51
	v_mul_f16_sdwa v37, v67, v37 dst_sel:DWORD dst_unused:UNUSED_PAD src0_sel:WORD_1 src1_sel:DWORD
	v_fma_f16 v37, v67, v53, -v37
	v_mul_f16_sdwa v53, v68, v55 dst_sel:DWORD dst_unused:UNUSED_PAD src0_sel:WORD_1 src1_sel:DWORD
	v_lshrrev_b32_e32 v57, 16, v41
	v_fma_f16 v53, v68, v40, v53
	v_mul_f16_sdwa v40, v68, v40 dst_sel:DWORD dst_unused:UNUSED_PAD src0_sel:WORD_1 src1_sel:DWORD
	ds_read2_b32 v[46:47], v79 offset0:100 offset1:202
	ds_read2_b32 v[48:49], v80 offset0:148 offset1:250
	v_fma_f16 v40, v68, v55, -v40
	v_mul_f16_sdwa v55, v69, v57 dst_sel:DWORD dst_unused:UNUSED_PAD src0_sel:WORD_1 src1_sel:DWORD
	s_waitcnt lgkmcnt(4)
	v_lshrrev_b32_e32 v59, 16, v44
	v_fma_f16 v55, v69, v41, v55
	v_mul_f16_sdwa v41, v69, v41 dst_sel:DWORD dst_unused:UNUSED_PAD src0_sel:WORD_1 src1_sel:DWORD
	v_fma_f16 v41, v69, v57, -v41
	v_mul_f16_sdwa v57, v70, v59 dst_sel:DWORD dst_unused:UNUSED_PAD src0_sel:WORD_1 src1_sel:DWORD
	v_lshrrev_b32_e32 v50, 16, v34
	v_lshrrev_b32_e32 v62, 16, v45
	v_fma_f16 v57, v70, v44, v57
	v_mul_f16_sdwa v44, v70, v44 dst_sel:DWORD dst_unused:UNUSED_PAD src0_sel:WORD_1 src1_sel:DWORD
	v_lshrrev_b32_e32 v52, 16, v35
	v_fma_f16 v44, v70, v59, -v44
	v_mul_f16_sdwa v59, v71, v62 dst_sel:DWORD dst_unused:UNUSED_PAD src0_sel:WORD_1 src1_sel:DWORD
	v_sub_f16_e32 v66, v34, v75
	v_sub_f16_e32 v36, v50, v36
	s_waitcnt lgkmcnt(3)
	v_lshrrev_b32_e32 v54, 16, v38
	s_waitcnt lgkmcnt(0)
	v_lshrrev_b32_e32 v64, 16, v48
	v_fma_f16 v59, v71, v45, v59
	v_mul_f16_sdwa v45, v71, v45 dst_sel:DWORD dst_unused:UNUSED_PAD src0_sel:WORD_1 src1_sel:DWORD
	v_fma_f16 v34, v34, 2.0, -v66
	v_fma_f16 v50, v50, 2.0, -v36
	v_sub_f16_e32 v51, v35, v51
	v_sub_f16_e32 v37, v52, v37
	v_lshrrev_b32_e32 v56, 16, v39
	v_fma_f16 v45, v71, v62, -v45
	v_mul_f16_sdwa v62, v72, v64 dst_sel:DWORD dst_unused:UNUSED_PAD src0_sel:WORD_1 src1_sel:DWORD
	v_fma_f16 v35, v35, 2.0, -v51
	v_fma_f16 v52, v52, 2.0, -v37
	v_sub_f16_e32 v53, v38, v53
	v_sub_f16_e32 v40, v54, v40
	v_pack_b32_f16 v34, v34, v50
	v_pack_b32_f16 v36, v66, v36
	v_lshrrev_b32_e32 v58, 16, v42
	v_lshrrev_b32_e32 v74, 16, v49
	v_fma_f16 v62, v72, v48, v62
	v_mul_f16_sdwa v48, v72, v48 dst_sel:DWORD dst_unused:UNUSED_PAD src0_sel:WORD_1 src1_sel:DWORD
	v_fma_f16 v38, v38, 2.0, -v53
	v_fma_f16 v54, v54, 2.0, -v40
	v_sub_f16_e32 v55, v39, v55
	v_sub_f16_e32 v41, v56, v41
	s_barrier
	ds_write2_b32 v159, v34, v36 offset1:34
	v_pack_b32_f16 v34, v35, v52
	v_pack_b32_f16 v35, v51, v37
	v_lshrrev_b32_e32 v60, 16, v43
	v_fma_f16 v48, v72, v64, -v48
	v_mul_f16_sdwa v64, v73, v74 dst_sel:DWORD dst_unused:UNUSED_PAD src0_sel:WORD_1 src1_sel:DWORD
	v_fma_f16 v39, v39, 2.0, -v55
	v_fma_f16 v56, v56, 2.0, -v41
	v_sub_f16_e32 v57, v42, v57
	v_sub_f16_e32 v44, v58, v44
	ds_write2_b32 v160, v34, v35 offset1:34
	v_pack_b32_f16 v34, v38, v54
	v_pack_b32_f16 v35, v53, v40
	v_lshrrev_b32_e32 v63, 16, v46
	v_fma_f16 v64, v73, v49, v64
	v_mul_f16_sdwa v49, v73, v49 dst_sel:DWORD dst_unused:UNUSED_PAD src0_sel:WORD_1 src1_sel:DWORD
	v_fma_f16 v42, v42, 2.0, -v57
	v_fma_f16 v58, v58, 2.0, -v44
	v_sub_f16_e32 v59, v43, v59
	v_sub_f16_e32 v45, v60, v45
	ds_write2_b32 v161, v34, v35 offset1:34
	v_pack_b32_f16 v34, v39, v56
	v_pack_b32_f16 v35, v55, v41
	v_lshrrev_b32_e32 v65, 16, v47
	v_fma_f16 v49, v73, v74, -v49
	v_fma_f16 v43, v43, 2.0, -v59
	v_fma_f16 v60, v60, 2.0, -v45
	v_sub_f16_e32 v62, v46, v62
	v_sub_f16_e32 v67, v63, v48
	ds_write2_b32 v162, v34, v35 offset1:34
	v_pack_b32_f16 v34, v42, v58
	v_pack_b32_f16 v35, v57, v44
	v_fma_f16 v46, v46, 2.0, -v62
	v_fma_f16 v63, v63, 2.0, -v67
	v_sub_f16_e32 v48, v47, v64
	v_sub_f16_e32 v49, v65, v49
	ds_write2_b32 v163, v34, v35 offset1:34
	v_pack_b32_f16 v34, v43, v60
	v_pack_b32_f16 v35, v59, v45
	v_fma_f16 v47, v47, 2.0, -v48
	v_fma_f16 v64, v65, 2.0, -v49
	ds_write2_b32 v164, v34, v35 offset1:34
	v_pack_b32_f16 v34, v46, v63
	v_pack_b32_f16 v35, v62, v67
	ds_write2_b32 v165, v34, v35 offset1:34
	v_pack_b32_f16 v34, v47, v64
	v_pack_b32_f16 v35, v48, v49
	ds_write2_b32 v166, v34, v35 offset1:34
	v_add_u32_e32 v34, 0x600, v21
	v_add_u32_e32 v36, 0x1000, v21
	s_waitcnt lgkmcnt(0)
	s_barrier
	ds_read2_b32 v[38:39], v21 offset1:102
	ds_read2_b32 v[34:35], v34 offset0:24 offset1:160
	ds_read2_b32 v[46:47], v36 offset0:64 offset1:166
	;; [unrolled: 1-line block ×6, first 2 shown]
	ds_read_b32 v50, v21 offset:5984
	s_and_saveexec_b64 s[2:3], s[0:1]
	s_cbranch_execz .LBB0_19
; %bb.18:
	ds_read_b32 v48, v21 offset:2040
	ds_read_b32 v19, v21 offset:4216
	;; [unrolled: 1-line block ×3, first 2 shown]
	s_waitcnt lgkmcnt(2)
	v_lshrrev_b32_e32 v49, 16, v48
	s_waitcnt lgkmcnt(1)
	v_lshrrev_b32_e32 v105, 16, v19
	;; [unrolled: 2-line block ×3, first 2 shown]
.LBB0_19:
	s_or_b64 exec, exec, s[2:3]
	s_waitcnt lgkmcnt(6)
	v_lshrrev_b32_e32 v51, 16, v35
	v_mul_f16_sdwa v65, v24, v51 dst_sel:DWORD dst_unused:UNUSED_PAD src0_sel:WORD_1 src1_sel:DWORD
	s_waitcnt lgkmcnt(5)
	v_lshrrev_b32_e32 v52, 16, v46
	v_fma_f16 v65, v24, v35, v65
	v_mul_f16_sdwa v35, v24, v35 dst_sel:DWORD dst_unused:UNUSED_PAD src0_sel:WORD_1 src1_sel:DWORD
	v_fma_f16 v24, v24, v51, -v35
	v_mul_f16_sdwa v35, v25, v52 dst_sel:DWORD dst_unused:UNUSED_PAD src0_sel:WORD_1 src1_sel:DWORD
	s_waitcnt lgkmcnt(4)
	v_lshrrev_b32_e32 v54, 16, v44
	v_fma_f16 v35, v25, v46, v35
	v_mul_f16_sdwa v46, v25, v46 dst_sel:DWORD dst_unused:UNUSED_PAD src0_sel:WORD_1 src1_sel:DWORD
	v_fma_f16 v25, v25, v52, -v46
	v_mul_f16_sdwa v46, v30, v54 dst_sel:DWORD dst_unused:UNUSED_PAD src0_sel:WORD_1 src1_sel:DWORD
	v_lshrrev_b32_e32 v55, 16, v47
	v_fma_f16 v46, v30, v44, v46
	v_mul_f16_sdwa v44, v30, v44 dst_sel:DWORD dst_unused:UNUSED_PAD src0_sel:WORD_1 src1_sel:DWORD
	v_fma_f16 v30, v30, v54, -v44
	v_mul_f16_sdwa v44, v31, v55 dst_sel:DWORD dst_unused:UNUSED_PAD src0_sel:WORD_1 src1_sel:DWORD
	;; [unrolled: 5-line block ×3, first 2 shown]
	s_waitcnt lgkmcnt(2)
	v_lshrrev_b32_e32 v58, 16, v42
	v_fma_f16 v47, v28, v45, v47
	v_mul_f16_sdwa v45, v28, v45 dst_sel:DWORD dst_unused:UNUSED_PAD src0_sel:WORD_1 src1_sel:DWORD
	v_fma_f16 v28, v28, v57, -v45
	v_mul_f16_sdwa v45, v29, v58 dst_sel:DWORD dst_unused:UNUSED_PAD src0_sel:WORD_1 src1_sel:DWORD
	s_waitcnt lgkmcnt(1)
	v_lshrrev_b32_e32 v60, 16, v40
	v_fma_f16 v45, v29, v42, v45
	v_mul_f16_sdwa v42, v29, v42 dst_sel:DWORD dst_unused:UNUSED_PAD src0_sel:WORD_1 src1_sel:DWORD
	v_fma_f16 v29, v29, v58, -v42
	v_mul_f16_sdwa v42, v26, v60 dst_sel:DWORD dst_unused:UNUSED_PAD src0_sel:WORD_1 src1_sel:DWORD
	v_lshrrev_b32_e32 v61, 16, v43
	v_fma_f16 v42, v26, v40, v42
	v_mul_f16_sdwa v40, v26, v40 dst_sel:DWORD dst_unused:UNUSED_PAD src0_sel:WORD_1 src1_sel:DWORD
	v_fma_f16 v26, v26, v60, -v40
	v_mul_f16_sdwa v40, v27, v61 dst_sel:DWORD dst_unused:UNUSED_PAD src0_sel:WORD_1 src1_sel:DWORD
	;; [unrolled: 5-line block ×3, first 2 shown]
	s_waitcnt lgkmcnt(0)
	v_lshrrev_b32_e32 v64, 16, v50
	v_fma_f16 v43, v32, v41, v43
	v_mul_f16_sdwa v41, v32, v41 dst_sel:DWORD dst_unused:UNUSED_PAD src0_sel:WORD_1 src1_sel:DWORD
	v_fma_f16 v32, v32, v63, -v41
	v_mul_f16_sdwa v41, v33, v64 dst_sel:DWORD dst_unused:UNUSED_PAD src0_sel:WORD_1 src1_sel:DWORD
	v_fma_f16 v41, v33, v50, v41
	v_mul_f16_sdwa v50, v33, v50 dst_sel:DWORD dst_unused:UNUSED_PAD src0_sel:WORD_1 src1_sel:DWORD
	v_add_f16_e32 v51, v65, v35
	v_lshrrev_b32_e32 v17, 16, v38
	v_fma_f16 v33, v33, v64, -v50
	v_add_f16_e32 v50, v38, v65
	v_fma_f16 v38, v51, -0.5, v38
	v_sub_f16_e32 v51, v24, v25
	s_mov_b32 s4, 0xbaee
	s_movk_i32 s5, 0x3aee
	v_fma_f16 v52, v51, s4, v38
	v_fma_f16 v38, v51, s5, v38
	v_add_f16_e32 v51, v17, v24
	v_add_f16_e32 v24, v24, v25
	v_add_f16_e32 v50, v50, v35
	v_fma_f16 v17, v24, -0.5, v17
	v_sub_f16_e32 v24, v65, v35
	v_add_f16_e32 v35, v46, v44
	v_lshrrev_b32_e32 v53, 16, v39
	v_add_f16_e32 v51, v51, v25
	v_fma_f16 v25, v24, s5, v17
	v_fma_f16 v17, v24, s4, v17
	v_add_f16_e32 v24, v39, v46
	v_fma_f16 v35, v35, -0.5, v39
	v_sub_f16_e32 v39, v30, v31
	v_fma_f16 v54, v39, s4, v35
	v_fma_f16 v35, v39, s5, v35
	v_add_f16_e32 v39, v53, v30
	v_add_f16_e32 v30, v30, v31
	v_add_f16_e32 v39, v39, v31
	v_fma_f16 v30, v30, -0.5, v53
	v_sub_f16_e32 v31, v46, v44
	v_add_f16_e32 v46, v47, v45
	v_lshrrev_b32_e32 v56, 16, v36
	v_add_f16_e32 v24, v24, v44
	v_fma_f16 v44, v31, s5, v30
	v_fma_f16 v30, v31, s4, v30
	v_add_f16_e32 v31, v36, v47
	v_fma_f16 v36, v46, -0.5, v36
	v_sub_f16_e32 v46, v28, v29
	;; [unrolled: 15-line block ×4, first 2 shown]
	v_fma_f16 v56, v42, s4, v34
	v_fma_f16 v34, v42, s5, v34
	v_add_f16_e32 v42, v62, v32
	v_add_f16_e32 v32, v32, v33
	;; [unrolled: 1-line block ×3, first 2 shown]
	v_fma_f16 v32, v32, -0.5, v62
	v_sub_f16_e32 v33, v43, v41
	v_pack_b32_f16 v17, v38, v17
	v_add_f16_e32 v27, v27, v41
	v_fma_f16 v41, v33, s5, v32
	v_fma_f16 v32, v33, s4, v32
	s_barrier
	v_pack_b32_f16 v33, v50, v51
	v_pack_b32_f16 v25, v52, v25
	ds_write_b32 v82, v17 offset:544
	v_pack_b32_f16 v17, v24, v39
	v_pack_b32_f16 v24, v54, v44
	ds_write2_b32 v82, v33, v25 offset1:68
	ds_write2_b32 v83, v17, v24 offset1:68
	v_pack_b32_f16 v17, v35, v30
	ds_write_b32 v83, v17 offset:544
	v_pack_b32_f16 v17, v31, v46
	v_pack_b32_f16 v24, v53, v45
	ds_write2_b32 v84, v17, v24 offset1:68
	v_pack_b32_f16 v17, v36, v28
	ds_write_b32 v84, v17 offset:544
	v_pack_b32_f16 v17, v29, v47
	v_pack_b32_f16 v24, v55, v40
	;; [unrolled: 5-line block ×3, first 2 shown]
	ds_write2_b32 v86, v17, v24 offset1:68
	v_pack_b32_f16 v17, v34, v32
	ds_write_b32 v86, v17 offset:544
	s_and_saveexec_b64 s[2:3], s[0:1]
	s_cbranch_execz .LBB0_21
; %bb.20:
	v_mul_f16_sdwa v17, v23, v11 dst_sel:DWORD dst_unused:UNUSED_PAD src0_sel:WORD_1 src1_sel:DWORD
	v_mul_f16_sdwa v26, v22, v105 dst_sel:DWORD dst_unused:UNUSED_PAD src0_sel:WORD_1 src1_sel:DWORD
	v_fma_f16 v17, v23, v15, -v17
	v_mul_f16_sdwa v24, v22, v19 dst_sel:DWORD dst_unused:UNUSED_PAD src0_sel:WORD_1 src1_sel:DWORD
	v_fma_f16 v19, v22, v19, v26
	v_mul_f16_sdwa v15, v23, v15 dst_sel:DWORD dst_unused:UNUSED_PAD src0_sel:WORD_1 src1_sel:DWORD
	v_fma_f16 v24, v22, v105, -v24
	v_add_f16_e32 v22, v19, v48
	v_fma_f16 v11, v23, v11, v15
	v_add_f16_e32 v25, v24, v49
	v_add_f16_e32 v15, v22, v11
	;; [unrolled: 1-line block ×3, first 2 shown]
	v_sub_f16_e32 v23, v19, v11
	v_add_f16_e32 v11, v19, v11
	v_add_f16_e32 v25, v17, v25
	v_fma_f16 v22, v22, -0.5, v49
	v_fma_f16 v11, v11, -0.5, v48
	v_sub_f16_e32 v17, v24, v17
	v_fma_f16 v26, v23, s4, v22
	v_fma_f16 v22, v23, s5, v22
	;; [unrolled: 1-line block ×4, first 2 shown]
	v_pack_b32_f16 v15, v15, v25
	v_pack_b32_f16 v11, v11, v22
	v_add_u32_e32 v17, 0x1400, v167
	ds_write2_b32 v17, v15, v11 offset0:148 offset1:216
	v_pack_b32_f16 v11, v19, v26
	ds_write_b32 v167, v11 offset:6256
.LBB0_21:
	s_or_b64 exec, exec, s[2:3]
	v_add_u32_e32 v11, 0x200, v21
	s_waitcnt lgkmcnt(0)
	s_barrier
	ds_read2_b32 v[24:25], v11 offset0:76 offset1:178
	v_add_u32_e32 v15, 0x400, v21
	ds_read2_b32 v[26:27], v15 offset0:152 offset1:254
	v_add_u32_e32 v39, 0x800, v21
	;; [unrolled: 2-line block ×4, first 2 shown]
	s_waitcnt lgkmcnt(3)
	v_lshrrev_b32_e32 v19, 16, v24
	ds_read2_b32 v[32:33], v41 offset0:124 offset1:226
	v_add_u32_e32 v42, 0x1200, v21
	ds_read2_b32 v[34:35], v42 offset0:72 offset1:174
	v_add_u32_e32 v43, 0x1400, v21
	v_mul_f16_sdwa v57, v0, v19 dst_sel:DWORD dst_unused:UNUSED_PAD src0_sel:WORD_1 src1_sel:DWORD
	s_waitcnt lgkmcnt(4)
	v_lshrrev_b32_e32 v38, 16, v26
	ds_read2_b32 v[36:37], v43 offset0:148 offset1:250
	v_fma_f16 v57, v0, v24, v57
	v_mul_f16_sdwa v24, v0, v24 dst_sel:DWORD dst_unused:UNUSED_PAD src0_sel:WORD_1 src1_sel:DWORD
	s_waitcnt lgkmcnt(4)
	v_lshrrev_b32_e32 v44, 16, v28
	v_fma_f16 v0, v0, v19, -v24
	v_mul_f16_sdwa v19, v1, v38 dst_sel:DWORD dst_unused:UNUSED_PAD src0_sel:WORD_1 src1_sel:DWORD
	v_mul_f16_sdwa v24, v1, v26 dst_sel:DWORD dst_unused:UNUSED_PAD src0_sel:WORD_1 src1_sel:DWORD
	s_waitcnt lgkmcnt(3)
	v_lshrrev_b32_e32 v45, 16, v30
	v_fma_f16 v19, v1, v26, v19
	v_fma_f16 v1, v1, v38, -v24
	v_mul_f16_sdwa v24, v2, v44 dst_sel:DWORD dst_unused:UNUSED_PAD src0_sel:WORD_1 src1_sel:DWORD
	v_mul_f16_sdwa v26, v2, v28 dst_sel:DWORD dst_unused:UNUSED_PAD src0_sel:WORD_1 src1_sel:DWORD
	s_waitcnt lgkmcnt(2)
	v_lshrrev_b32_e32 v46, 16, v32
	v_fma_f16 v24, v2, v28, v24
	;; [unrolled: 6-line block ×4, first 2 shown]
	v_fma_f16 v8, v8, v46, -v30
	v_mul_f16_sdwa v30, v9, v47 dst_sel:DWORD dst_unused:UNUSED_PAD src0_sel:WORD_1 src1_sel:DWORD
	v_mul_f16_sdwa v32, v9, v34 dst_sel:DWORD dst_unused:UNUSED_PAD src0_sel:WORD_1 src1_sel:DWORD
	v_lshrrev_b32_e32 v50, 16, v25
	v_fma_f16 v30, v9, v34, v30
	v_fma_f16 v9, v9, v47, -v32
	v_mul_f16_sdwa v32, v10, v48 dst_sel:DWORD dst_unused:UNUSED_PAD src0_sel:WORD_1 src1_sel:DWORD
	v_mul_f16_sdwa v34, v10, v36 dst_sel:DWORD dst_unused:UNUSED_PAD src0_sel:WORD_1 src1_sel:DWORD
	v_fma_f16 v32, v10, v36, v32
	v_fma_f16 v10, v10, v48, -v34
	v_mul_f16_sdwa v34, v4, v50 dst_sel:DWORD dst_unused:UNUSED_PAD src0_sel:WORD_1 src1_sel:DWORD
	v_lshrrev_b32_e32 v51, 16, v27
	v_fma_f16 v34, v4, v25, v34
	v_mul_f16_sdwa v25, v4, v25 dst_sel:DWORD dst_unused:UNUSED_PAD src0_sel:WORD_1 src1_sel:DWORD
	v_fma_f16 v4, v4, v50, -v25
	v_mul_f16_sdwa v25, v5, v51 dst_sel:DWORD dst_unused:UNUSED_PAD src0_sel:WORD_1 src1_sel:DWORD
	v_lshrrev_b32_e32 v52, 16, v29
	v_fma_f16 v25, v5, v27, v25
	v_mul_f16_sdwa v27, v5, v27 dst_sel:DWORD dst_unused:UNUSED_PAD src0_sel:WORD_1 src1_sel:DWORD
	;; [unrolled: 5-line block ×3, first 2 shown]
	ds_read2_b32 v[22:23], v21 offset1:102
	v_fma_f16 v6, v6, v52, -v29
	v_mul_f16_sdwa v29, v7, v53 dst_sel:DWORD dst_unused:UNUSED_PAD src0_sel:WORD_1 src1_sel:DWORD
	v_lshrrev_b32_e32 v54, 16, v33
	v_fma_f16 v29, v7, v31, v29
	v_mul_f16_sdwa v31, v7, v31 dst_sel:DWORD dst_unused:UNUSED_PAD src0_sel:WORD_1 src1_sel:DWORD
	v_fma_f16 v7, v7, v53, -v31
	v_mul_f16_sdwa v31, v12, v54 dst_sel:DWORD dst_unused:UNUSED_PAD src0_sel:WORD_1 src1_sel:DWORD
	v_lshrrev_b32_e32 v55, 16, v35
	v_fma_f16 v31, v12, v33, v31
	v_mul_f16_sdwa v33, v12, v33 dst_sel:DWORD dst_unused:UNUSED_PAD src0_sel:WORD_1 src1_sel:DWORD
	v_fma_f16 v12, v12, v54, -v33
	v_mul_f16_sdwa v33, v13, v55 dst_sel:DWORD dst_unused:UNUSED_PAD src0_sel:WORD_1 src1_sel:DWORD
	s_waitcnt lgkmcnt(0)
	v_lshrrev_b32_e32 v17, 16, v22
	v_lshrrev_b32_e32 v56, 16, v37
	v_fma_f16 v33, v13, v35, v33
	v_mul_f16_sdwa v35, v13, v35 dst_sel:DWORD dst_unused:UNUSED_PAD src0_sel:WORD_1 src1_sel:DWORD
	v_sub_f16_e32 v26, v22, v26
	v_sub_f16_e32 v9, v1, v9
	;; [unrolled: 1-line block ×4, first 2 shown]
	v_fma_f16 v13, v13, v55, -v35
	v_mul_f16_sdwa v35, v14, v56 dst_sel:DWORD dst_unused:UNUSED_PAD src0_sel:WORD_1 src1_sel:DWORD
	v_mul_f16_sdwa v36, v14, v37 dst_sel:DWORD dst_unused:UNUSED_PAD src0_sel:WORD_1 src1_sel:DWORD
	v_sub_f16_e32 v3, v17, v3
	v_sub_f16_e32 v30, v19, v30
	v_fma_f16 v1, v1, 2.0, -v9
	v_sub_f16_e32 v8, v0, v8
	v_sub_f16_e32 v32, v24, v32
	v_fma_f16 v2, v2, 2.0, -v10
	v_add_f16_e32 v9, v26, v9
	v_add_f16_e32 v10, v28, v10
	v_lshrrev_b32_e32 v49, 16, v23
	v_fma_f16 v35, v14, v37, v35
	v_fma_f16 v14, v14, v56, -v36
	v_fma_f16 v22, v22, 2.0, -v26
	v_fma_f16 v19, v19, 2.0, -v30
	;; [unrolled: 1-line block ×4, first 2 shown]
	v_sub_f16_e32 v30, v3, v30
	v_fma_f16 v26, v26, 2.0, -v9
	v_sub_f16_e32 v32, v8, v32
	v_fma_f16 v28, v28, 2.0, -v10
	s_mov_b32 s0, 0xb9a8
	v_fma_f16 v17, v17, 2.0, -v3
	v_fma_f16 v0, v0, 2.0, -v8
	;; [unrolled: 1-line block ×4, first 2 shown]
	v_fma_f16 v37, v28, s0, v26
	s_movk_i32 s1, 0x39a8
	v_sub_f16_e32 v29, v23, v29
	v_sub_f16_e32 v7, v49, v7
	v_sub_f16_e32 v33, v25, v33
	v_sub_f16_e32 v13, v5, v13
	v_sub_f16_e32 v31, v34, v31
	v_sub_f16_e32 v12, v4, v12
	v_sub_f16_e32 v35, v27, v35
	v_sub_f16_e32 v14, v6, v14
	v_fma_f16 v38, v8, s0, v3
	v_fma_f16 v8, v8, s1, v37
	;; [unrolled: 1-line block ×3, first 2 shown]
	v_fma_f16 v25, v25, 2.0, -v33
	v_fma_f16 v5, v5, 2.0, -v13
	;; [unrolled: 1-line block ×4, first 2 shown]
	v_add_f16_e32 v13, v29, v13
	v_sub_f16_e32 v33, v7, v33
	v_add_f16_e32 v14, v31, v14
	v_sub_f16_e32 v35, v12, v35
	v_fma_f16 v28, v28, s0, v38
	v_fma_f16 v38, v32, s1, v30
	;; [unrolled: 1-line block ×3, first 2 shown]
	v_fma_f16 v23, v23, 2.0, -v29
	v_fma_f16 v37, v49, 2.0, -v7
	;; [unrolled: 1-line block ×8, first 2 shown]
	v_fma_f16 v10, v10, s0, v38
	v_fma_f16 v38, v31, s0, v29
	;; [unrolled: 1-line block ×3, first 2 shown]
	v_sub_f16_e32 v19, v22, v19
	v_sub_f16_e32 v1, v17, v1
	;; [unrolled: 1-line block ×8, first 2 shown]
	v_fma_f16 v12, v12, s1, v38
	v_fma_f16 v31, v31, s0, v44
	v_fma_f16 v36, v36, 2.0, -v24
	v_fma_f16 v0, v0, 2.0, -v2
	;; [unrolled: 1-line block ×4, first 2 shown]
	v_add_f16_e32 v2, v19, v2
	v_sub_f16_e32 v24, v1, v24
	v_fma_f16 v34, v34, 2.0, -v27
	v_fma_f16 v4, v4, 2.0, -v6
	v_fma_f16 v29, v29, 2.0, -v12
	v_fma_f16 v7, v7, 2.0, -v31
	v_add_f16_e32 v6, v25, v6
	v_sub_f16_e32 v27, v5, v27
	v_fma_f16 v38, v14, s1, v13
	v_fma_f16 v44, v35, s1, v33
	v_fma_f16 v22, v22, 2.0, -v19
	v_fma_f16 v17, v17, 2.0, -v1
	;; [unrolled: 1-line block ×8, first 2 shown]
	v_fma_f16 v35, v35, s1, v38
	v_fma_f16 v14, v14, s0, v44
	v_pack_b32_f16 v3, v26, v3
	v_pack_b32_f16 v7, v29, v7
	v_fma_f16 v9, v9, 2.0, -v32
	v_fma_f16 v30, v30, 2.0, -v10
	;; [unrolled: 1-line block ×4, first 2 shown]
	v_pack_b32_f16 v1, v19, v1
	ds_write2_b32 v11, v3, v7 offset0:76 offset1:178
	v_pack_b32_f16 v3, v25, v5
	v_sub_f16_e32 v36, v22, v36
	v_sub_f16_e32 v0, v17, v0
	;; [unrolled: 1-line block ×4, first 2 shown]
	v_pack_b32_f16 v9, v9, v30
	ds_write2_b32 v15, v1, v3 offset0:152 offset1:254
	v_pack_b32_f16 v1, v13, v33
	v_fma_f16 v17, v17, 2.0, -v0
	v_pack_b32_f16 v0, v36, v0
	ds_write2_b32 v39, v9, v1 offset0:100 offset1:202
	v_pack_b32_f16 v1, v34, v4
	v_pack_b32_f16 v8, v8, v28
	ds_write2_b32 v40, v0, v1 offset0:48 offset1:150
	v_pack_b32_f16 v0, v12, v31
	v_fma_f16 v22, v22, 2.0, -v36
	v_fma_f16 v23, v23, 2.0, -v34
	;; [unrolled: 1-line block ×3, first 2 shown]
	v_pack_b32_f16 v2, v2, v24
	ds_write2_b32 v41, v8, v0 offset0:124 offset1:226
	v_pack_b32_f16 v0, v6, v27
	v_pack_b32_f16 v17, v22, v17
	;; [unrolled: 1-line block ×4, first 2 shown]
	ds_write2_b32 v42, v2, v0 offset0:72 offset1:174
	v_pack_b32_f16 v0, v35, v14
	ds_write2_b32 v21, v17, v19 offset1:102
	ds_write2_b32 v43, v10, v0 offset0:148 offset1:250
	s_waitcnt lgkmcnt(0)
	s_barrier
	s_and_b64 exec, exec, vcc
	s_cbranch_execz .LBB0_23
; %bb.22:
	global_load_dword v7, v18, s[12:13]
	ds_read_b32 v12, v21
	v_mad_u64_u32 v[2:3], s[0:1], s10, v20, 0
	v_mad_u64_u32 v[4:5], s[0:1], s8, v16, 0
	v_mov_b32_e32 v8, v3
	s_waitcnt lgkmcnt(0)
	v_lshrrev_b32_e32 v3, 16, v12
	v_mov_b32_e32 v10, v5
	v_mad_u64_u32 v[8:9], s[0:1], s11, v20, v[8:9]
	v_mad_u64_u32 v[10:11], s[0:1], s9, v16, v[10:11]
	s_mov_b32 s6, 0x14141414
	s_mov_b32 s7, 0x3f441414
	s_movk_i32 s16, 0x1ff
	v_mov_b32_e32 v1, s15
	s_movk_i32 s15, 0xffe
	v_mov_b32_e32 v6, 0x7c00
	;; [unrolled: 2-line block ×3, first 2 shown]
	s_mov_b32 s14, 0x8000
	s_mov_b32 s17, 0xffff
	s_mul_i32 s11, s9, 0x180
	s_mul_i32 s18, s9, 0x300
	s_waitcnt vmcnt(0)
	v_mul_f16_sdwa v5, v3, v7 dst_sel:DWORD dst_unused:UNUSED_PAD src0_sel:DWORD src1_sel:WORD_1
	v_mul_f16_sdwa v9, v12, v7 dst_sel:DWORD dst_unused:UNUSED_PAD src0_sel:DWORD src1_sel:WORD_1
	v_fma_f16 v5, v12, v7, v5
	v_fma_f16 v3, v7, v3, -v9
	v_cvt_f32_f16_e32 v7, v5
	v_cvt_f32_f16_e32 v11, v3
	v_mov_b32_e32 v3, v8
	v_mov_b32_e32 v5, v10
	v_cvt_f64_f32_e32 v[8:9], v7
	v_cvt_f64_f32_e32 v[10:11], v11
	v_mul_f64 v[8:9], v[8:9], s[6:7]
	v_mul_f64 v[10:11], v[10:11], s[6:7]
	v_and_or_b32 v7, v9, s16, v8
	v_and_or_b32 v10, v11, s16, v10
	v_cmp_ne_u32_e32 vcc, 0, v7
	v_lshrrev_b32_e32 v8, 8, v9
	v_bfe_u32 v12, v9, 20, 11
	v_cndmask_b32_e64 v7, 0, 1, vcc
	v_cmp_ne_u32_e32 vcc, 0, v10
	v_lshrrev_b32_e32 v13, 8, v11
	v_bfe_u32 v14, v11, 20, 11
	v_sub_u32_e32 v15, 0x3f1, v12
	v_cndmask_b32_e64 v10, 0, 1, vcc
	v_and_or_b32 v7, v8, s15, v7
	v_sub_u32_e32 v17, 0x3f1, v14
	v_med3_i32 v8, v15, 0, 13
	v_and_or_b32 v10, v13, s15, v10
	v_or_b32_e32 v15, 0x1000, v7
	v_add_u32_e32 v12, 0xfffffc10, v12
	v_med3_i32 v13, v17, 0, 13
	v_cmp_ne_u32_e32 vcc, 0, v7
	v_or_b32_e32 v19, 0x1000, v10
	v_lshrrev_b32_e32 v21, v8, v15
	v_add_u32_e32 v14, 0xfffffc10, v14
	v_lshl_or_b32 v17, v12, 12, v7
	v_cndmask_b32_e64 v7, 0, 1, vcc
	v_cmp_ne_u32_e32 vcc, 0, v10
	v_lshrrev_b32_e32 v22, v13, v19
	v_lshlrev_b32_e32 v8, v8, v21
	v_lshl_or_b32 v20, v14, 12, v10
	v_cndmask_b32_e64 v10, 0, 1, vcc
	v_lshlrev_b32_e32 v13, v13, v22
	v_cmp_ne_u32_e32 vcc, v8, v15
	v_lshl_or_b32 v7, v7, 9, v6
	v_lshl_or_b32 v10, v10, 9, v6
	v_cndmask_b32_e64 v8, 0, 1, vcc
	v_cmp_ne_u32_e32 vcc, v13, v19
	v_or_b32_e32 v8, v21, v8
	v_and_b32_sdwa v9, v9, s14 dst_sel:DWORD dst_unused:UNUSED_PAD src0_sel:WORD_1 src1_sel:DWORD
	v_cndmask_b32_e64 v13, 0, 1, vcc
	v_cmp_gt_i32_e32 vcc, 1, v12
	v_or_b32_e32 v13, v22, v13
	v_lshrrev_b32_e32 v11, 16, v11
	v_cndmask_b32_e32 v8, v17, v8, vcc
	v_cmp_gt_i32_e32 vcc, 1, v14
	v_and_b32_e32 v15, 7, v8
	v_cmp_eq_u32_e64 s[0:1], 3, v15
	v_cndmask_b32_e32 v13, v20, v13, vcc
	v_cmp_lt_i32_e32 vcc, 5, v15
	v_lshrrev_b32_e32 v8, 2, v8
	v_and_b32_e32 v17, 7, v13
	s_or_b64 vcc, s[0:1], vcc
	v_cmp_lt_i32_e64 s[2:3], 5, v17
	v_cmp_eq_u32_e64 s[4:5], 3, v17
	v_addc_co_u32_e32 v8, vcc, 0, v8, vcc
	v_lshrrev_b32_e32 v13, 2, v13
	s_or_b64 vcc, s[4:5], s[2:3]
	v_addc_co_u32_e32 v13, vcc, 0, v13, vcc
	v_cmp_gt_i32_e32 vcc, 31, v12
	v_lshl_add_u64 v[0:1], v[2:3], 2, v[0:1]
	v_lshl_add_u64 v[2:3], v[4:5], 2, v[0:1]
	v_cndmask_b32_e32 v8, v6, v8, vcc
	v_cmp_gt_i32_e32 vcc, 31, v14
	ds_read2_b32 v[4:5], v18 offset0:96 offset1:192
	s_nop 0
	v_cndmask_b32_e32 v13, v6, v13, vcc
	v_cmp_eq_u32_e32 vcc, s10, v12
	s_nop 1
	v_cndmask_b32_e32 v7, v8, v7, vcc
	v_cmp_eq_u32_e32 vcc, s10, v14
	v_bitop3_b32 v7, v9, s17, v7 bitop3:0xc8
	s_waitcnt lgkmcnt(0)
	v_lshrrev_b32_e32 v9, 16, v4
	v_cndmask_b32_e32 v8, v13, v10, vcc
	v_and_or_b32 v8, v11, s14, v8
	v_lshl_or_b32 v7, v8, 16, v7
	global_store_dword v[2:3], v7, off
	global_load_dword v8, v18, s[12:13] offset:384
	v_mov_b32_e32 v7, 0x180
	v_mad_u64_u32 v[2:3], s[0:1], s8, v7, v[2:3]
	v_add_u32_e32 v3, s11, v3
	s_waitcnt vmcnt(0)
	v_mul_f16_sdwa v10, v9, v8 dst_sel:DWORD dst_unused:UNUSED_PAD src0_sel:DWORD src1_sel:WORD_1
	v_mul_f16_sdwa v11, v4, v8 dst_sel:DWORD dst_unused:UNUSED_PAD src0_sel:DWORD src1_sel:WORD_1
	v_fma_f16 v4, v4, v8, v10
	v_fma_f16 v8, v8, v9, -v11
	v_cvt_f32_f16_e32 v4, v4
	v_cvt_f32_f16_e32 v10, v8
	v_cvt_f64_f32_e32 v[8:9], v4
	v_cvt_f64_f32_e32 v[10:11], v10
	v_mul_f64 v[8:9], v[8:9], s[6:7]
	v_mul_f64 v[10:11], v[10:11], s[6:7]
	v_and_or_b32 v4, v9, s16, v8
	v_and_or_b32 v10, v11, s16, v10
	v_cmp_ne_u32_e32 vcc, 0, v4
	v_lshrrev_b32_e32 v8, 8, v9
	v_bfe_u32 v12, v9, 20, 11
	v_cndmask_b32_e64 v4, 0, 1, vcc
	v_cmp_ne_u32_e32 vcc, 0, v10
	v_lshrrev_b32_e32 v13, 8, v11
	v_bfe_u32 v14, v11, 20, 11
	v_sub_u32_e32 v15, 0x3f1, v12
	v_cndmask_b32_e64 v10, 0, 1, vcc
	v_and_or_b32 v4, v8, s15, v4
	v_sub_u32_e32 v17, 0x3f1, v14
	v_med3_i32 v8, v15, 0, 13
	v_and_or_b32 v10, v13, s15, v10
	v_or_b32_e32 v15, 0x1000, v4
	v_add_u32_e32 v12, 0xfffffc10, v12
	v_med3_i32 v13, v17, 0, 13
	v_cmp_ne_u32_e32 vcc, 0, v4
	v_or_b32_e32 v19, 0x1000, v10
	v_lshrrev_b32_e32 v21, v8, v15
	v_add_u32_e32 v14, 0xfffffc10, v14
	v_lshl_or_b32 v17, v12, 12, v4
	v_cndmask_b32_e64 v4, 0, 1, vcc
	v_cmp_ne_u32_e32 vcc, 0, v10
	v_lshrrev_b32_e32 v22, v13, v19
	v_lshlrev_b32_e32 v8, v8, v21
	v_lshl_or_b32 v20, v14, 12, v10
	v_cndmask_b32_e64 v10, 0, 1, vcc
	v_lshlrev_b32_e32 v13, v13, v22
	v_cmp_ne_u32_e32 vcc, v8, v15
	v_lshl_or_b32 v4, v4, 9, v6
	v_lshl_or_b32 v10, v10, 9, v6
	v_cndmask_b32_e64 v8, 0, 1, vcc
	v_cmp_ne_u32_e32 vcc, v13, v19
	v_or_b32_e32 v8, v21, v8
	v_and_b32_sdwa v9, v9, s14 dst_sel:DWORD dst_unused:UNUSED_PAD src0_sel:WORD_1 src1_sel:DWORD
	v_cndmask_b32_e64 v13, 0, 1, vcc
	v_cmp_gt_i32_e32 vcc, 1, v12
	v_or_b32_e32 v13, v22, v13
	v_lshrrev_b32_e32 v11, 16, v11
	v_cndmask_b32_e32 v8, v17, v8, vcc
	v_cmp_gt_i32_e32 vcc, 1, v14
	v_and_b32_e32 v15, 7, v8
	v_cmp_eq_u32_e64 s[0:1], 3, v15
	v_cndmask_b32_e32 v13, v20, v13, vcc
	v_cmp_lt_i32_e32 vcc, 5, v15
	v_lshrrev_b32_e32 v8, 2, v8
	v_and_b32_e32 v17, 7, v13
	s_or_b64 vcc, s[0:1], vcc
	v_cmp_lt_i32_e64 s[2:3], 5, v17
	v_cmp_eq_u32_e64 s[4:5], 3, v17
	v_addc_co_u32_e32 v8, vcc, 0, v8, vcc
	v_lshrrev_b32_e32 v13, 2, v13
	s_or_b64 vcc, s[4:5], s[2:3]
	v_addc_co_u32_e32 v13, vcc, 0, v13, vcc
	v_cmp_gt_i32_e32 vcc, 31, v12
	s_nop 1
	v_cndmask_b32_e32 v8, v6, v8, vcc
	v_cmp_gt_i32_e32 vcc, 31, v14
	s_nop 1
	v_cndmask_b32_e32 v13, v6, v13, vcc
	v_cmp_eq_u32_e32 vcc, s10, v12
	s_nop 1
	v_cndmask_b32_e32 v4, v8, v4, vcc
	v_cmp_eq_u32_e32 vcc, s10, v14
	v_bitop3_b32 v4, v9, s17, v4 bitop3:0xc8
	s_nop 0
	v_cndmask_b32_e32 v8, v13, v10, vcc
	v_and_or_b32 v8, v11, s14, v8
	v_lshl_or_b32 v4, v8, 16, v4
	global_store_dword v[2:3], v4, off
	global_load_dword v4, v18, s[12:13] offset:768
	v_lshrrev_b32_e32 v8, 16, v5
	v_mad_u64_u32 v[2:3], s[0:1], s8, v7, v[2:3]
	v_add_u32_e32 v3, s11, v3
	s_waitcnt vmcnt(0)
	v_mul_f16_sdwa v9, v8, v4 dst_sel:DWORD dst_unused:UNUSED_PAD src0_sel:DWORD src1_sel:WORD_1
	v_mul_f16_sdwa v10, v5, v4 dst_sel:DWORD dst_unused:UNUSED_PAD src0_sel:DWORD src1_sel:WORD_1
	v_fma_f16 v5, v5, v4, v9
	v_fma_f16 v4, v4, v8, -v10
	v_cvt_f32_f16_e32 v5, v5
	v_cvt_f32_f16_e32 v8, v4
	v_cvt_f64_f32_e32 v[4:5], v5
	v_cvt_f64_f32_e32 v[8:9], v8
	v_mul_f64 v[4:5], v[4:5], s[6:7]
	v_mul_f64 v[8:9], v[8:9], s[6:7]
	v_and_or_b32 v4, v5, s16, v4
	v_and_or_b32 v8, v9, s16, v8
	v_cmp_ne_u32_e32 vcc, 0, v4
	v_lshrrev_b32_e32 v10, 8, v5
	v_bfe_u32 v11, v5, 20, 11
	v_cndmask_b32_e64 v4, 0, 1, vcc
	v_cmp_ne_u32_e32 vcc, 0, v8
	v_lshrrev_b32_e32 v12, 8, v9
	v_bfe_u32 v13, v9, 20, 11
	v_sub_u32_e32 v14, 0x3f1, v11
	v_cndmask_b32_e64 v8, 0, 1, vcc
	v_and_or_b32 v4, v10, s15, v4
	v_sub_u32_e32 v15, 0x3f1, v13
	v_med3_i32 v10, v14, 0, 13
	v_and_or_b32 v8, v12, s15, v8
	v_or_b32_e32 v14, 0x1000, v4
	v_add_u32_e32 v11, 0xfffffc10, v11
	v_med3_i32 v12, v15, 0, 13
	v_cmp_ne_u32_e32 vcc, 0, v4
	v_or_b32_e32 v17, 0x1000, v8
	v_lshrrev_b32_e32 v20, v10, v14
	v_add_u32_e32 v13, 0xfffffc10, v13
	v_lshl_or_b32 v15, v11, 12, v4
	v_cndmask_b32_e64 v4, 0, 1, vcc
	v_cmp_ne_u32_e32 vcc, 0, v8
	v_lshrrev_b32_e32 v21, v12, v17
	v_lshlrev_b32_e32 v10, v10, v20
	v_lshl_or_b32 v19, v13, 12, v8
	v_cndmask_b32_e64 v8, 0, 1, vcc
	v_lshlrev_b32_e32 v12, v12, v21
	v_cmp_ne_u32_e32 vcc, v10, v14
	v_lshl_or_b32 v4, v4, 9, v6
	v_lshl_or_b32 v8, v8, 9, v6
	v_cndmask_b32_e64 v10, 0, 1, vcc
	v_cmp_ne_u32_e32 vcc, v12, v17
	v_or_b32_e32 v10, v20, v10
	v_and_b32_sdwa v5, v5, s14 dst_sel:DWORD dst_unused:UNUSED_PAD src0_sel:WORD_1 src1_sel:DWORD
	v_cndmask_b32_e64 v12, 0, 1, vcc
	v_cmp_gt_i32_e32 vcc, 1, v11
	v_or_b32_e32 v12, v21, v12
	v_lshrrev_b32_e32 v9, 16, v9
	v_cndmask_b32_e32 v10, v15, v10, vcc
	v_cmp_gt_i32_e32 vcc, 1, v13
	v_and_b32_e32 v14, 7, v10
	v_cmp_eq_u32_e64 s[0:1], 3, v14
	v_cndmask_b32_e32 v12, v19, v12, vcc
	v_cmp_lt_i32_e32 vcc, 5, v14
	v_lshrrev_b32_e32 v10, 2, v10
	v_and_b32_e32 v15, 7, v12
	s_or_b64 vcc, s[0:1], vcc
	v_cmp_lt_i32_e64 s[2:3], 5, v15
	v_cmp_eq_u32_e64 s[4:5], 3, v15
	v_addc_co_u32_e32 v10, vcc, 0, v10, vcc
	v_lshrrev_b32_e32 v12, 2, v12
	s_or_b64 vcc, s[4:5], s[2:3]
	v_addc_co_u32_e32 v12, vcc, 0, v12, vcc
	v_cmp_gt_i32_e32 vcc, 31, v11
	s_nop 1
	v_cndmask_b32_e32 v10, v6, v10, vcc
	v_cmp_gt_i32_e32 vcc, 31, v13
	s_nop 1
	v_cndmask_b32_e32 v12, v6, v12, vcc
	v_cmp_eq_u32_e32 vcc, s10, v11
	s_nop 1
	v_cndmask_b32_e32 v4, v10, v4, vcc
	v_cmp_eq_u32_e32 vcc, s10, v13
	v_bitop3_b32 v4, v5, s17, v4 bitop3:0xc8
	s_nop 0
	v_cndmask_b32_e32 v8, v12, v8, vcc
	v_and_or_b32 v8, v9, s14, v8
	v_lshl_or_b32 v4, v8, 16, v4
	global_store_dword v[2:3], v4, off
	global_load_dword v8, v18, s[12:13] offset:1152
	v_add_u32_e32 v4, 0x400, v18
	ds_read2_b32 v[4:5], v4 offset0:32 offset1:128
	v_mad_u64_u32 v[2:3], s[0:1], s8, v7, v[2:3]
	v_add_u32_e32 v3, s11, v3
	s_waitcnt lgkmcnt(0)
	v_lshrrev_b32_e32 v9, 16, v4
	s_waitcnt vmcnt(0)
	v_mul_f16_sdwa v10, v9, v8 dst_sel:DWORD dst_unused:UNUSED_PAD src0_sel:DWORD src1_sel:WORD_1
	v_mul_f16_sdwa v11, v4, v8 dst_sel:DWORD dst_unused:UNUSED_PAD src0_sel:DWORD src1_sel:WORD_1
	v_fma_f16 v4, v4, v8, v10
	v_fma_f16 v8, v8, v9, -v11
	v_cvt_f32_f16_e32 v4, v4
	v_cvt_f32_f16_e32 v10, v8
	v_cvt_f64_f32_e32 v[8:9], v4
	v_cvt_f64_f32_e32 v[10:11], v10
	v_mul_f64 v[8:9], v[8:9], s[6:7]
	v_mul_f64 v[10:11], v[10:11], s[6:7]
	v_and_or_b32 v4, v9, s16, v8
	v_and_or_b32 v10, v11, s16, v10
	v_cmp_ne_u32_e32 vcc, 0, v4
	v_lshrrev_b32_e32 v8, 8, v9
	v_bfe_u32 v12, v9, 20, 11
	v_cndmask_b32_e64 v4, 0, 1, vcc
	v_cmp_ne_u32_e32 vcc, 0, v10
	v_lshrrev_b32_e32 v13, 8, v11
	v_bfe_u32 v14, v11, 20, 11
	v_sub_u32_e32 v15, 0x3f1, v12
	v_cndmask_b32_e64 v10, 0, 1, vcc
	v_and_or_b32 v4, v8, s15, v4
	v_sub_u32_e32 v17, 0x3f1, v14
	v_med3_i32 v8, v15, 0, 13
	v_and_or_b32 v10, v13, s15, v10
	v_or_b32_e32 v15, 0x1000, v4
	v_add_u32_e32 v12, 0xfffffc10, v12
	v_med3_i32 v13, v17, 0, 13
	v_cmp_ne_u32_e32 vcc, 0, v4
	v_or_b32_e32 v19, 0x1000, v10
	v_lshrrev_b32_e32 v21, v8, v15
	v_add_u32_e32 v14, 0xfffffc10, v14
	v_lshl_or_b32 v17, v12, 12, v4
	v_cndmask_b32_e64 v4, 0, 1, vcc
	v_cmp_ne_u32_e32 vcc, 0, v10
	v_lshrrev_b32_e32 v22, v13, v19
	v_lshlrev_b32_e32 v8, v8, v21
	v_lshl_or_b32 v20, v14, 12, v10
	v_cndmask_b32_e64 v10, 0, 1, vcc
	v_lshlrev_b32_e32 v13, v13, v22
	v_cmp_ne_u32_e32 vcc, v8, v15
	v_lshl_or_b32 v4, v4, 9, v6
	v_lshl_or_b32 v10, v10, 9, v6
	v_cndmask_b32_e64 v8, 0, 1, vcc
	v_cmp_ne_u32_e32 vcc, v13, v19
	v_or_b32_e32 v8, v21, v8
	v_and_b32_sdwa v9, v9, s14 dst_sel:DWORD dst_unused:UNUSED_PAD src0_sel:WORD_1 src1_sel:DWORD
	v_cndmask_b32_e64 v13, 0, 1, vcc
	v_cmp_gt_i32_e32 vcc, 1, v12
	v_or_b32_e32 v13, v22, v13
	v_lshrrev_b32_e32 v11, 16, v11
	v_cndmask_b32_e32 v8, v17, v8, vcc
	v_cmp_gt_i32_e32 vcc, 1, v14
	v_and_b32_e32 v15, 7, v8
	v_cmp_eq_u32_e64 s[0:1], 3, v15
	v_cndmask_b32_e32 v13, v20, v13, vcc
	v_cmp_lt_i32_e32 vcc, 5, v15
	v_lshrrev_b32_e32 v8, 2, v8
	v_and_b32_e32 v17, 7, v13
	s_or_b64 vcc, s[0:1], vcc
	v_cmp_lt_i32_e64 s[2:3], 5, v17
	v_cmp_eq_u32_e64 s[4:5], 3, v17
	v_addc_co_u32_e32 v8, vcc, 0, v8, vcc
	v_lshrrev_b32_e32 v13, 2, v13
	s_or_b64 vcc, s[4:5], s[2:3]
	v_addc_co_u32_e32 v13, vcc, 0, v13, vcc
	v_cmp_gt_i32_e32 vcc, 31, v12
	s_nop 1
	v_cndmask_b32_e32 v8, v6, v8, vcc
	v_cmp_gt_i32_e32 vcc, 31, v14
	s_nop 1
	v_cndmask_b32_e32 v13, v6, v13, vcc
	v_cmp_eq_u32_e32 vcc, s10, v12
	s_nop 1
	v_cndmask_b32_e32 v4, v8, v4, vcc
	v_cmp_eq_u32_e32 vcc, s10, v14
	v_bitop3_b32 v4, v9, s17, v4 bitop3:0xc8
	s_nop 0
	v_cndmask_b32_e32 v8, v13, v10, vcc
	v_and_or_b32 v8, v11, s14, v8
	v_lshl_or_b32 v4, v8, 16, v4
	global_store_dword v[2:3], v4, off
	global_load_dword v12, v18, s[12:13] offset:1536
	v_or_b32_e32 v10, 0x180, v16
	v_mad_u64_u32 v[8:9], s[0:1], s8, v10, 0
	v_mov_b32_e32 v4, v9
	v_mad_u64_u32 v[10:11], s[0:1], s9, v10, v[4:5]
	v_lshrrev_b32_e32 v4, 16, v5
	s_waitcnt vmcnt(0)
	v_mul_f16_sdwa v9, v4, v12 dst_sel:DWORD dst_unused:UNUSED_PAD src0_sel:DWORD src1_sel:WORD_1
	v_mul_f16_sdwa v11, v5, v12 dst_sel:DWORD dst_unused:UNUSED_PAD src0_sel:DWORD src1_sel:WORD_1
	v_fma_f16 v5, v5, v12, v9
	v_fma_f16 v4, v12, v4, -v11
	v_cvt_f32_f16_e32 v11, v5
	v_cvt_f32_f16_e32 v12, v4
	v_mov_b32_e32 v9, v10
	v_lshl_add_u64 v[4:5], v[8:9], 2, v[0:1]
	v_cvt_f64_f32_e32 v[8:9], v11
	v_cvt_f64_f32_e32 v[10:11], v12
	v_mul_f64 v[8:9], v[8:9], s[6:7]
	v_mul_f64 v[10:11], v[10:11], s[6:7]
	v_and_or_b32 v8, v9, s16, v8
	v_and_or_b32 v10, v11, s16, v10
	v_cmp_ne_u32_e32 vcc, 0, v8
	v_lshrrev_b32_e32 v12, 8, v9
	v_bfe_u32 v13, v9, 20, 11
	v_cndmask_b32_e64 v8, 0, 1, vcc
	v_cmp_ne_u32_e32 vcc, 0, v10
	v_lshrrev_b32_e32 v14, 8, v11
	v_bfe_u32 v15, v11, 20, 11
	v_sub_u32_e32 v17, 0x3f1, v13
	v_cndmask_b32_e64 v10, 0, 1, vcc
	v_and_or_b32 v8, v12, s15, v8
	v_sub_u32_e32 v19, 0x3f1, v15
	v_med3_i32 v12, v17, 0, 13
	v_and_or_b32 v10, v14, s15, v10
	v_or_b32_e32 v17, 0x1000, v8
	v_add_u32_e32 v13, 0xfffffc10, v13
	v_med3_i32 v14, v19, 0, 13
	v_cmp_ne_u32_e32 vcc, 0, v8
	v_or_b32_e32 v20, 0x1000, v10
	v_lshrrev_b32_e32 v22, v12, v17
	v_add_u32_e32 v15, 0xfffffc10, v15
	v_lshl_or_b32 v19, v13, 12, v8
	v_cndmask_b32_e64 v8, 0, 1, vcc
	v_cmp_ne_u32_e32 vcc, 0, v10
	v_lshrrev_b32_e32 v23, v14, v20
	v_lshlrev_b32_e32 v12, v12, v22
	v_lshl_or_b32 v21, v15, 12, v10
	v_cndmask_b32_e64 v10, 0, 1, vcc
	v_lshlrev_b32_e32 v14, v14, v23
	v_cmp_ne_u32_e32 vcc, v12, v17
	v_lshl_or_b32 v8, v8, 9, v6
	v_lshl_or_b32 v10, v10, 9, v6
	v_cndmask_b32_e64 v12, 0, 1, vcc
	v_cmp_ne_u32_e32 vcc, v14, v20
	v_or_b32_e32 v12, v22, v12
	v_and_b32_sdwa v9, v9, s14 dst_sel:DWORD dst_unused:UNUSED_PAD src0_sel:WORD_1 src1_sel:DWORD
	v_cndmask_b32_e64 v14, 0, 1, vcc
	v_cmp_gt_i32_e32 vcc, 1, v13
	v_or_b32_e32 v14, v23, v14
	v_lshrrev_b32_e32 v11, 16, v11
	v_cndmask_b32_e32 v12, v19, v12, vcc
	v_cmp_gt_i32_e32 vcc, 1, v15
	v_and_b32_e32 v17, 7, v12
	v_cmp_eq_u32_e64 s[0:1], 3, v17
	v_cndmask_b32_e32 v14, v21, v14, vcc
	v_cmp_lt_i32_e32 vcc, 5, v17
	v_lshrrev_b32_e32 v12, 2, v12
	v_and_b32_e32 v19, 7, v14
	s_or_b64 vcc, s[0:1], vcc
	v_cmp_lt_i32_e64 s[2:3], 5, v19
	v_cmp_eq_u32_e64 s[4:5], 3, v19
	v_addc_co_u32_e32 v12, vcc, 0, v12, vcc
	v_lshrrev_b32_e32 v14, 2, v14
	s_or_b64 vcc, s[4:5], s[2:3]
	v_addc_co_u32_e32 v14, vcc, 0, v14, vcc
	v_cmp_gt_i32_e32 vcc, 31, v13
	s_nop 1
	v_cndmask_b32_e32 v12, v6, v12, vcc
	v_cmp_gt_i32_e32 vcc, 31, v15
	s_nop 1
	v_cndmask_b32_e32 v14, v6, v14, vcc
	v_cmp_eq_u32_e32 vcc, s10, v13
	s_nop 1
	v_cndmask_b32_e32 v8, v12, v8, vcc
	v_cmp_eq_u32_e32 vcc, s10, v15
	v_bitop3_b32 v8, v9, s17, v8 bitop3:0xc8
	s_nop 0
	v_cndmask_b32_e32 v10, v14, v10, vcc
	v_and_or_b32 v10, v11, s14, v10
	v_lshl_or_b32 v8, v10, 16, v8
	global_store_dword v[4:5], v8, off
	global_load_dword v9, v18, s[12:13] offset:1920
	v_add_u32_e32 v4, 0x600, v18
	ds_read2_b32 v[4:5], v4 offset0:96 offset1:192
	v_mov_b32_e32 v8, 0x300
	v_mad_u64_u32 v[2:3], s[0:1], s8, v8, v[2:3]
	v_add_u32_e32 v3, s18, v3
	s_waitcnt lgkmcnt(0)
	v_lshrrev_b32_e32 v10, 16, v4
	s_waitcnt vmcnt(0)
	v_mul_f16_sdwa v11, v10, v9 dst_sel:DWORD dst_unused:UNUSED_PAD src0_sel:DWORD src1_sel:WORD_1
	v_mul_f16_sdwa v12, v4, v9 dst_sel:DWORD dst_unused:UNUSED_PAD src0_sel:DWORD src1_sel:WORD_1
	v_fma_f16 v4, v4, v9, v11
	v_fma_f16 v9, v9, v10, -v12
	v_cvt_f32_f16_e32 v4, v4
	v_cvt_f32_f16_e32 v9, v9
	v_cvt_f64_f32_e32 v[10:11], v4
	v_cvt_f64_f32_e32 v[12:13], v9
	v_mul_f64 v[10:11], v[10:11], s[6:7]
	v_mul_f64 v[12:13], v[12:13], s[6:7]
	v_and_or_b32 v4, v11, s16, v10
	v_and_or_b32 v12, v13, s16, v12
	v_cmp_ne_u32_e32 vcc, 0, v4
	v_lshrrev_b32_e32 v9, 8, v11
	v_bfe_u32 v10, v11, 20, 11
	v_cndmask_b32_e64 v4, 0, 1, vcc
	v_cmp_ne_u32_e32 vcc, 0, v12
	v_lshrrev_b32_e32 v14, 8, v13
	v_bfe_u32 v15, v13, 20, 11
	v_sub_u32_e32 v17, 0x3f1, v10
	v_cndmask_b32_e64 v12, 0, 1, vcc
	v_and_or_b32 v4, v9, s15, v4
	v_sub_u32_e32 v19, 0x3f1, v15
	v_med3_i32 v9, v17, 0, 13
	v_and_or_b32 v12, v14, s15, v12
	v_or_b32_e32 v17, 0x1000, v4
	v_add_u32_e32 v10, 0xfffffc10, v10
	v_med3_i32 v14, v19, 0, 13
	v_cmp_ne_u32_e32 vcc, 0, v4
	v_or_b32_e32 v20, 0x1000, v12
	v_lshrrev_b32_e32 v22, v9, v17
	v_add_u32_e32 v15, 0xfffffc10, v15
	v_lshl_or_b32 v19, v10, 12, v4
	v_cndmask_b32_e64 v4, 0, 1, vcc
	v_cmp_ne_u32_e32 vcc, 0, v12
	v_lshrrev_b32_e32 v23, v14, v20
	v_lshlrev_b32_e32 v9, v9, v22
	v_lshl_or_b32 v21, v15, 12, v12
	v_cndmask_b32_e64 v12, 0, 1, vcc
	v_lshlrev_b32_e32 v14, v14, v23
	v_cmp_ne_u32_e32 vcc, v9, v17
	v_lshl_or_b32 v4, v4, 9, v6
	v_lshl_or_b32 v12, v12, 9, v6
	v_cndmask_b32_e64 v9, 0, 1, vcc
	v_cmp_ne_u32_e32 vcc, v14, v20
	v_or_b32_e32 v9, v22, v9
	v_and_b32_sdwa v11, v11, s14 dst_sel:DWORD dst_unused:UNUSED_PAD src0_sel:WORD_1 src1_sel:DWORD
	v_cndmask_b32_e64 v14, 0, 1, vcc
	v_cmp_gt_i32_e32 vcc, 1, v10
	v_or_b32_e32 v14, v23, v14
	v_lshrrev_b32_e32 v13, 16, v13
	v_cndmask_b32_e32 v9, v19, v9, vcc
	v_cmp_gt_i32_e32 vcc, 1, v15
	v_and_b32_e32 v17, 7, v9
	v_cmp_eq_u32_e64 s[0:1], 3, v17
	v_cndmask_b32_e32 v14, v21, v14, vcc
	v_cmp_lt_i32_e32 vcc, 5, v17
	v_lshrrev_b32_e32 v9, 2, v9
	v_and_b32_e32 v19, 7, v14
	s_or_b64 vcc, s[0:1], vcc
	v_cmp_lt_i32_e64 s[2:3], 5, v19
	v_cmp_eq_u32_e64 s[4:5], 3, v19
	v_addc_co_u32_e32 v9, vcc, 0, v9, vcc
	v_lshrrev_b32_e32 v14, 2, v14
	s_or_b64 vcc, s[4:5], s[2:3]
	v_addc_co_u32_e32 v14, vcc, 0, v14, vcc
	v_cmp_gt_i32_e32 vcc, 31, v10
	s_nop 1
	v_cndmask_b32_e32 v9, v6, v9, vcc
	v_cmp_gt_i32_e32 vcc, 31, v15
	s_nop 1
	v_cndmask_b32_e32 v14, v6, v14, vcc
	v_cmp_eq_u32_e32 vcc, s10, v10
	s_nop 1
	v_cndmask_b32_e32 v4, v9, v4, vcc
	v_cmp_eq_u32_e32 vcc, s10, v15
	v_bitop3_b32 v4, v11, s17, v4 bitop3:0xc8
	s_nop 0
	v_cndmask_b32_e32 v9, v14, v12, vcc
	v_and_or_b32 v9, v13, s14, v9
	v_lshl_or_b32 v4, v9, 16, v4
	global_store_dword v[2:3], v4, off
	global_load_dword v4, v18, s[12:13] offset:2304
	v_lshrrev_b32_e32 v9, 16, v5
	v_mad_u64_u32 v[2:3], s[0:1], s8, v7, v[2:3]
	v_add_u32_e32 v3, s11, v3
	s_waitcnt vmcnt(0)
	v_mul_f16_sdwa v10, v9, v4 dst_sel:DWORD dst_unused:UNUSED_PAD src0_sel:DWORD src1_sel:WORD_1
	v_mul_f16_sdwa v11, v5, v4 dst_sel:DWORD dst_unused:UNUSED_PAD src0_sel:DWORD src1_sel:WORD_1
	v_fma_f16 v5, v5, v4, v10
	v_fma_f16 v4, v4, v9, -v11
	v_cvt_f32_f16_e32 v5, v5
	v_cvt_f32_f16_e32 v9, v4
	v_cvt_f64_f32_e32 v[4:5], v5
	v_cvt_f64_f32_e32 v[10:11], v9
	v_mul_f64 v[4:5], v[4:5], s[6:7]
	v_mul_f64 v[10:11], v[10:11], s[6:7]
	v_and_or_b32 v4, v5, s16, v4
	v_and_or_b32 v10, v11, s16, v10
	v_cmp_ne_u32_e32 vcc, 0, v4
	v_lshrrev_b32_e32 v9, 8, v5
	v_bfe_u32 v12, v5, 20, 11
	v_cndmask_b32_e64 v4, 0, 1, vcc
	v_cmp_ne_u32_e32 vcc, 0, v10
	v_lshrrev_b32_e32 v13, 8, v11
	v_bfe_u32 v14, v11, 20, 11
	v_sub_u32_e32 v15, 0x3f1, v12
	v_cndmask_b32_e64 v10, 0, 1, vcc
	v_and_or_b32 v4, v9, s15, v4
	v_sub_u32_e32 v17, 0x3f1, v14
	v_med3_i32 v9, v15, 0, 13
	v_and_or_b32 v10, v13, s15, v10
	v_or_b32_e32 v15, 0x1000, v4
	v_add_u32_e32 v12, 0xfffffc10, v12
	v_med3_i32 v13, v17, 0, 13
	v_cmp_ne_u32_e32 vcc, 0, v4
	v_or_b32_e32 v19, 0x1000, v10
	v_lshrrev_b32_e32 v21, v9, v15
	v_add_u32_e32 v14, 0xfffffc10, v14
	v_lshl_or_b32 v17, v12, 12, v4
	v_cndmask_b32_e64 v4, 0, 1, vcc
	v_cmp_ne_u32_e32 vcc, 0, v10
	v_lshrrev_b32_e32 v22, v13, v19
	v_lshlrev_b32_e32 v9, v9, v21
	v_lshl_or_b32 v20, v14, 12, v10
	v_cndmask_b32_e64 v10, 0, 1, vcc
	v_lshlrev_b32_e32 v13, v13, v22
	v_cmp_ne_u32_e32 vcc, v9, v15
	v_lshl_or_b32 v4, v4, 9, v6
	v_lshl_or_b32 v10, v10, 9, v6
	v_cndmask_b32_e64 v9, 0, 1, vcc
	v_cmp_ne_u32_e32 vcc, v13, v19
	v_or_b32_e32 v9, v21, v9
	v_and_b32_sdwa v5, v5, s14 dst_sel:DWORD dst_unused:UNUSED_PAD src0_sel:WORD_1 src1_sel:DWORD
	v_cndmask_b32_e64 v13, 0, 1, vcc
	v_cmp_gt_i32_e32 vcc, 1, v12
	v_or_b32_e32 v13, v22, v13
	v_lshrrev_b32_e32 v11, 16, v11
	v_cndmask_b32_e32 v9, v17, v9, vcc
	v_cmp_gt_i32_e32 vcc, 1, v14
	v_and_b32_e32 v15, 7, v9
	v_cmp_eq_u32_e64 s[0:1], 3, v15
	v_cndmask_b32_e32 v13, v20, v13, vcc
	v_cmp_lt_i32_e32 vcc, 5, v15
	v_lshrrev_b32_e32 v9, 2, v9
	v_and_b32_e32 v17, 7, v13
	s_or_b64 vcc, s[0:1], vcc
	v_cmp_lt_i32_e64 s[2:3], 5, v17
	v_cmp_eq_u32_e64 s[4:5], 3, v17
	v_addc_co_u32_e32 v9, vcc, 0, v9, vcc
	v_lshrrev_b32_e32 v13, 2, v13
	s_or_b64 vcc, s[4:5], s[2:3]
	v_addc_co_u32_e32 v13, vcc, 0, v13, vcc
	v_cmp_gt_i32_e32 vcc, 31, v12
	s_nop 1
	v_cndmask_b32_e32 v9, v6, v9, vcc
	v_cmp_gt_i32_e32 vcc, 31, v14
	s_nop 1
	v_cndmask_b32_e32 v13, v6, v13, vcc
	v_cmp_eq_u32_e32 vcc, s10, v12
	s_nop 1
	v_cndmask_b32_e32 v4, v9, v4, vcc
	v_cmp_eq_u32_e32 vcc, s10, v14
	v_bitop3_b32 v4, v5, s17, v4 bitop3:0xc8
	s_nop 0
	v_cndmask_b32_e32 v9, v13, v10, vcc
	v_and_or_b32 v9, v11, s14, v9
	v_lshl_or_b32 v4, v9, 16, v4
	global_store_dword v[2:3], v4, off
	global_load_dword v9, v18, s[12:13] offset:2688
	v_add_u32_e32 v4, 0xa00, v18
	ds_read2_b32 v[4:5], v4 offset0:32 offset1:128
	v_mad_u64_u32 v[2:3], s[0:1], s8, v7, v[2:3]
	v_add_u32_e32 v3, s11, v3
	s_waitcnt lgkmcnt(0)
	v_lshrrev_b32_e32 v10, 16, v4
	s_waitcnt vmcnt(0)
	v_mul_f16_sdwa v11, v10, v9 dst_sel:DWORD dst_unused:UNUSED_PAD src0_sel:DWORD src1_sel:WORD_1
	v_mul_f16_sdwa v12, v4, v9 dst_sel:DWORD dst_unused:UNUSED_PAD src0_sel:DWORD src1_sel:WORD_1
	v_fma_f16 v4, v4, v9, v11
	v_fma_f16 v9, v9, v10, -v12
	v_cvt_f32_f16_e32 v4, v4
	v_cvt_f32_f16_e32 v9, v9
	v_cvt_f64_f32_e32 v[10:11], v4
	v_cvt_f64_f32_e32 v[12:13], v9
	v_mul_f64 v[10:11], v[10:11], s[6:7]
	v_mul_f64 v[12:13], v[12:13], s[6:7]
	v_and_or_b32 v4, v11, s16, v10
	v_and_or_b32 v12, v13, s16, v12
	v_cmp_ne_u32_e32 vcc, 0, v4
	v_lshrrev_b32_e32 v9, 8, v11
	v_bfe_u32 v10, v11, 20, 11
	v_cndmask_b32_e64 v4, 0, 1, vcc
	v_cmp_ne_u32_e32 vcc, 0, v12
	v_lshrrev_b32_e32 v14, 8, v13
	v_bfe_u32 v15, v13, 20, 11
	v_sub_u32_e32 v17, 0x3f1, v10
	v_cndmask_b32_e64 v12, 0, 1, vcc
	v_and_or_b32 v4, v9, s15, v4
	v_sub_u32_e32 v19, 0x3f1, v15
	v_med3_i32 v9, v17, 0, 13
	v_and_or_b32 v12, v14, s15, v12
	v_or_b32_e32 v17, 0x1000, v4
	v_add_u32_e32 v10, 0xfffffc10, v10
	v_med3_i32 v14, v19, 0, 13
	v_cmp_ne_u32_e32 vcc, 0, v4
	v_or_b32_e32 v20, 0x1000, v12
	v_lshrrev_b32_e32 v22, v9, v17
	v_add_u32_e32 v15, 0xfffffc10, v15
	v_lshl_or_b32 v19, v10, 12, v4
	v_cndmask_b32_e64 v4, 0, 1, vcc
	v_cmp_ne_u32_e32 vcc, 0, v12
	v_lshrrev_b32_e32 v23, v14, v20
	v_lshlrev_b32_e32 v9, v9, v22
	v_lshl_or_b32 v21, v15, 12, v12
	v_cndmask_b32_e64 v12, 0, 1, vcc
	v_lshlrev_b32_e32 v14, v14, v23
	v_cmp_ne_u32_e32 vcc, v9, v17
	v_lshl_or_b32 v4, v4, 9, v6
	v_lshl_or_b32 v12, v12, 9, v6
	v_cndmask_b32_e64 v9, 0, 1, vcc
	v_cmp_ne_u32_e32 vcc, v14, v20
	v_or_b32_e32 v9, v22, v9
	v_and_b32_sdwa v11, v11, s14 dst_sel:DWORD dst_unused:UNUSED_PAD src0_sel:WORD_1 src1_sel:DWORD
	v_cndmask_b32_e64 v14, 0, 1, vcc
	v_cmp_gt_i32_e32 vcc, 1, v10
	v_or_b32_e32 v14, v23, v14
	v_lshrrev_b32_e32 v13, 16, v13
	v_cndmask_b32_e32 v9, v19, v9, vcc
	v_cmp_gt_i32_e32 vcc, 1, v15
	v_and_b32_e32 v17, 7, v9
	v_cmp_eq_u32_e64 s[0:1], 3, v17
	v_cndmask_b32_e32 v14, v21, v14, vcc
	v_cmp_lt_i32_e32 vcc, 5, v17
	v_lshrrev_b32_e32 v9, 2, v9
	v_and_b32_e32 v19, 7, v14
	s_or_b64 vcc, s[0:1], vcc
	v_cmp_lt_i32_e64 s[2:3], 5, v19
	v_cmp_eq_u32_e64 s[4:5], 3, v19
	v_addc_co_u32_e32 v9, vcc, 0, v9, vcc
	v_lshrrev_b32_e32 v14, 2, v14
	s_or_b64 vcc, s[4:5], s[2:3]
	v_addc_co_u32_e32 v14, vcc, 0, v14, vcc
	v_cmp_gt_i32_e32 vcc, 31, v10
	s_nop 1
	v_cndmask_b32_e32 v9, v6, v9, vcc
	v_cmp_gt_i32_e32 vcc, 31, v15
	s_nop 1
	v_cndmask_b32_e32 v14, v6, v14, vcc
	v_cmp_eq_u32_e32 vcc, s10, v10
	s_nop 1
	v_cndmask_b32_e32 v4, v9, v4, vcc
	v_cmp_eq_u32_e32 vcc, s10, v15
	v_bitop3_b32 v4, v11, s17, v4 bitop3:0xc8
	s_nop 0
	v_cndmask_b32_e32 v9, v14, v12, vcc
	v_and_or_b32 v9, v13, s14, v9
	v_lshl_or_b32 v4, v9, 16, v4
	global_store_dword v[2:3], v4, off
	global_load_dword v9, v18, s[12:13] offset:3072
	v_or_b32_e32 v12, 0x300, v16
	v_mad_u64_u32 v[10:11], s[0:1], s8, v12, 0
	v_mov_b32_e32 v4, v11
	v_mad_u64_u32 v[12:13], s[0:1], s9, v12, v[4:5]
	v_lshrrev_b32_e32 v4, 16, v5
	s_waitcnt vmcnt(0)
	v_mul_f16_sdwa v11, v4, v9 dst_sel:DWORD dst_unused:UNUSED_PAD src0_sel:DWORD src1_sel:WORD_1
	v_mul_f16_sdwa v13, v5, v9 dst_sel:DWORD dst_unused:UNUSED_PAD src0_sel:DWORD src1_sel:WORD_1
	v_fma_f16 v5, v5, v9, v11
	v_fma_f16 v4, v9, v4, -v13
	v_cvt_f32_f16_e32 v9, v5
	v_cvt_f32_f16_e32 v13, v4
	v_mov_b32_e32 v11, v12
	v_lshl_add_u64 v[4:5], v[10:11], 2, v[0:1]
	v_cvt_f64_f32_e32 v[10:11], v9
	v_cvt_f64_f32_e32 v[12:13], v13
	v_mul_f64 v[10:11], v[10:11], s[6:7]
	v_mul_f64 v[12:13], v[12:13], s[6:7]
	v_and_or_b32 v9, v11, s16, v10
	v_and_or_b32 v12, v13, s16, v12
	v_cmp_ne_u32_e32 vcc, 0, v9
	v_lshrrev_b32_e32 v10, 8, v11
	v_bfe_u32 v14, v11, 20, 11
	v_cndmask_b32_e64 v9, 0, 1, vcc
	v_cmp_ne_u32_e32 vcc, 0, v12
	v_lshrrev_b32_e32 v15, 8, v13
	v_bfe_u32 v17, v13, 20, 11
	v_sub_u32_e32 v19, 0x3f1, v14
	v_cndmask_b32_e64 v12, 0, 1, vcc
	v_and_or_b32 v9, v10, s15, v9
	v_sub_u32_e32 v20, 0x3f1, v17
	v_med3_i32 v10, v19, 0, 13
	v_and_or_b32 v12, v15, s15, v12
	v_or_b32_e32 v19, 0x1000, v9
	v_add_u32_e32 v14, 0xfffffc10, v14
	v_med3_i32 v15, v20, 0, 13
	v_cmp_ne_u32_e32 vcc, 0, v9
	v_or_b32_e32 v21, 0x1000, v12
	v_lshrrev_b32_e32 v23, v10, v19
	v_add_u32_e32 v17, 0xfffffc10, v17
	v_lshl_or_b32 v20, v14, 12, v9
	v_cndmask_b32_e64 v9, 0, 1, vcc
	v_cmp_ne_u32_e32 vcc, 0, v12
	v_lshrrev_b32_e32 v24, v15, v21
	v_lshlrev_b32_e32 v10, v10, v23
	v_lshl_or_b32 v22, v17, 12, v12
	v_cndmask_b32_e64 v12, 0, 1, vcc
	v_lshlrev_b32_e32 v15, v15, v24
	v_cmp_ne_u32_e32 vcc, v10, v19
	v_lshl_or_b32 v9, v9, 9, v6
	v_lshl_or_b32 v12, v12, 9, v6
	v_cndmask_b32_e64 v10, 0, 1, vcc
	v_cmp_ne_u32_e32 vcc, v15, v21
	v_or_b32_e32 v10, v23, v10
	v_and_b32_sdwa v11, v11, s14 dst_sel:DWORD dst_unused:UNUSED_PAD src0_sel:WORD_1 src1_sel:DWORD
	v_cndmask_b32_e64 v15, 0, 1, vcc
	v_cmp_gt_i32_e32 vcc, 1, v14
	v_or_b32_e32 v15, v24, v15
	v_lshrrev_b32_e32 v13, 16, v13
	v_cndmask_b32_e32 v10, v20, v10, vcc
	v_cmp_gt_i32_e32 vcc, 1, v17
	v_and_b32_e32 v19, 7, v10
	v_cmp_eq_u32_e64 s[0:1], 3, v19
	v_cndmask_b32_e32 v15, v22, v15, vcc
	v_cmp_lt_i32_e32 vcc, 5, v19
	v_lshrrev_b32_e32 v10, 2, v10
	v_and_b32_e32 v20, 7, v15
	s_or_b64 vcc, s[0:1], vcc
	v_cmp_lt_i32_e64 s[2:3], 5, v20
	v_cmp_eq_u32_e64 s[4:5], 3, v20
	v_addc_co_u32_e32 v10, vcc, 0, v10, vcc
	v_lshrrev_b32_e32 v15, 2, v15
	s_or_b64 vcc, s[4:5], s[2:3]
	v_addc_co_u32_e32 v15, vcc, 0, v15, vcc
	v_cmp_gt_i32_e32 vcc, 31, v14
	s_nop 1
	v_cndmask_b32_e32 v10, v6, v10, vcc
	v_cmp_gt_i32_e32 vcc, 31, v17
	s_nop 1
	v_cndmask_b32_e32 v15, v6, v15, vcc
	v_cmp_eq_u32_e32 vcc, s10, v14
	s_nop 1
	v_cndmask_b32_e32 v9, v10, v9, vcc
	v_cmp_eq_u32_e32 vcc, s10, v17
	v_bitop3_b32 v9, v11, s17, v9 bitop3:0xc8
	s_nop 0
	v_cndmask_b32_e32 v10, v15, v12, vcc
	v_and_or_b32 v10, v13, s14, v10
	v_lshl_or_b32 v9, v10, 16, v9
	global_store_dword v[4:5], v9, off
	global_load_dword v9, v18, s[12:13] offset:3456
	v_add_u32_e32 v4, 0xc00, v18
	ds_read2_b32 v[4:5], v4 offset0:96 offset1:192
	s_waitcnt lgkmcnt(0)
	v_lshrrev_b32_e32 v10, 16, v4
	s_waitcnt vmcnt(0)
	v_mul_f16_sdwa v11, v10, v9 dst_sel:DWORD dst_unused:UNUSED_PAD src0_sel:DWORD src1_sel:WORD_1
	v_mul_f16_sdwa v12, v4, v9 dst_sel:DWORD dst_unused:UNUSED_PAD src0_sel:DWORD src1_sel:WORD_1
	v_fma_f16 v4, v4, v9, v11
	v_fma_f16 v9, v9, v10, -v12
	v_cvt_f32_f16_e32 v4, v4
	v_cvt_f32_f16_e32 v9, v9
	v_mad_u64_u32 v[10:11], s[0:1], s8, v8, v[2:3]
	v_cvt_f64_f32_e32 v[2:3], v4
	v_cvt_f64_f32_e32 v[12:13], v9
	v_mul_f64 v[2:3], v[2:3], s[6:7]
	v_mul_f64 v[12:13], v[12:13], s[6:7]
	v_and_or_b32 v2, v3, s16, v2
	v_and_or_b32 v12, v13, s16, v12
	v_cmp_ne_u32_e32 vcc, 0, v2
	v_lshrrev_b32_e32 v4, 8, v3
	v_bfe_u32 v9, v3, 20, 11
	v_cndmask_b32_e64 v2, 0, 1, vcc
	v_cmp_ne_u32_e32 vcc, 0, v12
	v_lshrrev_b32_e32 v14, 8, v13
	v_bfe_u32 v15, v13, 20, 11
	v_sub_u32_e32 v17, 0x3f1, v9
	v_cndmask_b32_e64 v12, 0, 1, vcc
	v_and_or_b32 v2, v4, s15, v2
	v_sub_u32_e32 v19, 0x3f1, v15
	v_med3_i32 v4, v17, 0, 13
	v_and_or_b32 v12, v14, s15, v12
	v_or_b32_e32 v17, 0x1000, v2
	v_add_u32_e32 v9, 0xfffffc10, v9
	v_med3_i32 v14, v19, 0, 13
	v_cmp_ne_u32_e32 vcc, 0, v2
	v_or_b32_e32 v20, 0x1000, v12
	v_lshrrev_b32_e32 v22, v4, v17
	v_add_u32_e32 v15, 0xfffffc10, v15
	v_lshl_or_b32 v19, v9, 12, v2
	v_cndmask_b32_e64 v2, 0, 1, vcc
	v_cmp_ne_u32_e32 vcc, 0, v12
	v_lshrrev_b32_e32 v23, v14, v20
	v_lshlrev_b32_e32 v4, v4, v22
	v_lshl_or_b32 v21, v15, 12, v12
	v_cndmask_b32_e64 v12, 0, 1, vcc
	v_lshlrev_b32_e32 v14, v14, v23
	v_cmp_ne_u32_e32 vcc, v4, v17
	v_lshl_or_b32 v2, v2, 9, v6
	v_lshl_or_b32 v12, v12, 9, v6
	v_cndmask_b32_e64 v4, 0, 1, vcc
	v_cmp_ne_u32_e32 vcc, v14, v20
	v_or_b32_e32 v4, v22, v4
	v_and_b32_sdwa v3, v3, s14 dst_sel:DWORD dst_unused:UNUSED_PAD src0_sel:WORD_1 src1_sel:DWORD
	v_cndmask_b32_e64 v14, 0, 1, vcc
	v_cmp_gt_i32_e32 vcc, 1, v9
	v_or_b32_e32 v14, v23, v14
	v_lshrrev_b32_e32 v13, 16, v13
	v_cndmask_b32_e32 v4, v19, v4, vcc
	v_cmp_gt_i32_e32 vcc, 1, v15
	v_and_b32_e32 v17, 7, v4
	v_cmp_eq_u32_e64 s[0:1], 3, v17
	v_cndmask_b32_e32 v14, v21, v14, vcc
	v_cmp_lt_i32_e32 vcc, 5, v17
	v_lshrrev_b32_e32 v4, 2, v4
	v_and_b32_e32 v19, 7, v14
	s_or_b64 vcc, s[0:1], vcc
	v_cmp_lt_i32_e64 s[2:3], 5, v19
	v_cmp_eq_u32_e64 s[4:5], 3, v19
	v_addc_co_u32_e32 v4, vcc, 0, v4, vcc
	v_lshrrev_b32_e32 v14, 2, v14
	s_or_b64 vcc, s[4:5], s[2:3]
	v_addc_co_u32_e32 v14, vcc, 0, v14, vcc
	v_cmp_gt_i32_e32 vcc, 31, v9
	v_add_u32_e32 v11, s18, v11
	v_mov_b32_e32 v19, 0
	v_cndmask_b32_e32 v4, v6, v4, vcc
	v_cmp_gt_i32_e32 vcc, 31, v15
	s_movk_i32 s0, 0x1000
	s_nop 0
	v_cndmask_b32_e32 v14, v6, v14, vcc
	v_cmp_eq_u32_e32 vcc, s10, v9
	v_lshrrev_b32_e32 v9, 16, v5
	s_nop 0
	v_cndmask_b32_e32 v2, v4, v2, vcc
	v_cmp_eq_u32_e32 vcc, s10, v15
	v_bitop3_b32 v2, v3, s17, v2 bitop3:0xc8
	s_nop 0
	v_cndmask_b32_e32 v4, v14, v12, vcc
	v_and_or_b32 v4, v13, s14, v4
	v_lshl_or_b32 v2, v4, 16, v2
	global_store_dword v[10:11], v2, off
	global_load_dword v4, v18, s[12:13] offset:3840
	v_lshl_add_u64 v[2:3], s[12:13], 0, v[18:19]
	v_add_co_u32_e32 v2, vcc, s0, v2
	s_waitcnt vmcnt(0)
	v_mul_f16_sdwa v12, v9, v4 dst_sel:DWORD dst_unused:UNUSED_PAD src0_sel:DWORD src1_sel:WORD_1
	v_mul_f16_sdwa v13, v5, v4 dst_sel:DWORD dst_unused:UNUSED_PAD src0_sel:DWORD src1_sel:WORD_1
	v_fma_f16 v5, v5, v4, v12
	v_fma_f16 v4, v4, v9, -v13
	v_cvt_f32_f16_e32 v9, v5
	v_cvt_f32_f16_e32 v12, v4
	v_mad_u64_u32 v[4:5], s[0:1], s8, v7, v[10:11]
	v_cvt_f64_f32_e32 v[10:11], v9
	v_cvt_f64_f32_e32 v[12:13], v12
	v_mul_f64 v[10:11], v[10:11], s[6:7]
	v_addc_co_u32_e32 v3, vcc, 0, v3, vcc
	v_mul_f64 v[12:13], v[12:13], s[6:7]
	v_and_or_b32 v9, v11, s16, v10
	v_and_or_b32 v12, v13, s16, v12
	v_cmp_ne_u32_e32 vcc, 0, v9
	v_lshrrev_b32_e32 v10, 8, v11
	v_bfe_u32 v14, v11, 20, 11
	v_cndmask_b32_e64 v9, 0, 1, vcc
	v_cmp_ne_u32_e32 vcc, 0, v12
	v_lshrrev_b32_e32 v15, 8, v13
	v_bfe_u32 v17, v13, 20, 11
	v_sub_u32_e32 v19, 0x3f1, v14
	v_cndmask_b32_e64 v12, 0, 1, vcc
	v_and_or_b32 v9, v10, s15, v9
	v_sub_u32_e32 v20, 0x3f1, v17
	v_med3_i32 v10, v19, 0, 13
	v_and_or_b32 v12, v15, s15, v12
	v_or_b32_e32 v19, 0x1000, v9
	v_add_u32_e32 v14, 0xfffffc10, v14
	v_med3_i32 v15, v20, 0, 13
	v_cmp_ne_u32_e32 vcc, 0, v9
	v_or_b32_e32 v21, 0x1000, v12
	v_lshrrev_b32_e32 v23, v10, v19
	v_add_u32_e32 v17, 0xfffffc10, v17
	v_lshl_or_b32 v20, v14, 12, v9
	v_cndmask_b32_e64 v9, 0, 1, vcc
	v_cmp_ne_u32_e32 vcc, 0, v12
	v_lshrrev_b32_e32 v24, v15, v21
	v_lshlrev_b32_e32 v10, v10, v23
	v_lshl_or_b32 v22, v17, 12, v12
	v_cndmask_b32_e64 v12, 0, 1, vcc
	v_lshlrev_b32_e32 v15, v15, v24
	v_cmp_ne_u32_e32 vcc, v10, v19
	v_lshl_or_b32 v9, v9, 9, v6
	v_lshl_or_b32 v12, v12, 9, v6
	v_cndmask_b32_e64 v10, 0, 1, vcc
	v_cmp_ne_u32_e32 vcc, v15, v21
	v_or_b32_e32 v10, v23, v10
	v_and_b32_sdwa v11, v11, s14 dst_sel:DWORD dst_unused:UNUSED_PAD src0_sel:WORD_1 src1_sel:DWORD
	v_cndmask_b32_e64 v15, 0, 1, vcc
	v_cmp_gt_i32_e32 vcc, 1, v14
	v_or_b32_e32 v15, v24, v15
	v_lshrrev_b32_e32 v13, 16, v13
	v_cndmask_b32_e32 v10, v20, v10, vcc
	v_cmp_gt_i32_e32 vcc, 1, v17
	v_and_b32_e32 v19, 7, v10
	v_cmp_eq_u32_e64 s[0:1], 3, v19
	v_cndmask_b32_e32 v15, v22, v15, vcc
	v_cmp_lt_i32_e32 vcc, 5, v19
	v_lshrrev_b32_e32 v10, 2, v10
	v_and_b32_e32 v20, 7, v15
	s_or_b64 vcc, s[0:1], vcc
	v_cmp_lt_i32_e64 s[2:3], 5, v20
	v_cmp_eq_u32_e64 s[4:5], 3, v20
	v_addc_co_u32_e32 v10, vcc, 0, v10, vcc
	v_lshrrev_b32_e32 v15, 2, v15
	s_or_b64 vcc, s[4:5], s[2:3]
	v_addc_co_u32_e32 v15, vcc, 0, v15, vcc
	v_cmp_gt_i32_e32 vcc, 31, v14
	v_add_u32_e32 v5, s11, v5
	s_nop 0
	v_cndmask_b32_e32 v10, v6, v10, vcc
	v_cmp_gt_i32_e32 vcc, 31, v17
	s_nop 1
	v_cndmask_b32_e32 v15, v6, v15, vcc
	v_cmp_eq_u32_e32 vcc, s10, v14
	s_nop 1
	v_cndmask_b32_e32 v9, v10, v9, vcc
	v_cmp_eq_u32_e32 vcc, s10, v17
	v_bitop3_b32 v9, v11, s17, v9 bitop3:0xc8
	v_or_b32_e32 v17, 0x480, v16
	v_cndmask_b32_e32 v10, v15, v12, vcc
	v_and_or_b32 v10, v13, s14, v10
	v_lshl_or_b32 v9, v10, 16, v9
	global_store_dword v[4:5], v9, off
	global_load_dword v9, v[2:3], off offset:128
	v_add_u32_e32 v10, 0x1000, v18
	ds_read2_b32 v[10:11], v10 offset0:32 offset1:128
	v_mad_u64_u32 v[4:5], s[0:1], s8, v7, v[4:5]
	v_add_u32_e32 v5, s11, v5
	v_lshlrev_b32_e32 v19, 2, v17
	s_waitcnt lgkmcnt(0)
	v_lshrrev_b32_e32 v12, 16, v10
	s_waitcnt vmcnt(0)
	v_mul_f16_sdwa v13, v12, v9 dst_sel:DWORD dst_unused:UNUSED_PAD src0_sel:DWORD src1_sel:WORD_1
	v_mul_f16_sdwa v14, v10, v9 dst_sel:DWORD dst_unused:UNUSED_PAD src0_sel:DWORD src1_sel:WORD_1
	v_fma_f16 v10, v10, v9, v13
	v_fma_f16 v9, v9, v12, -v14
	v_cvt_f32_f16_e32 v10, v10
	v_cvt_f32_f16_e32 v9, v9
	v_cvt_f64_f32_e32 v[12:13], v10
	v_cvt_f64_f32_e32 v[14:15], v9
	v_mul_f64 v[12:13], v[12:13], s[6:7]
	v_mul_f64 v[14:15], v[14:15], s[6:7]
	v_and_or_b32 v9, v13, s16, v12
	v_and_or_b32 v14, v15, s16, v14
	v_cmp_ne_u32_e32 vcc, 0, v9
	v_lshrrev_b32_e32 v10, 8, v13
	v_bfe_u32 v12, v13, 20, 11
	v_cndmask_b32_e64 v9, 0, 1, vcc
	v_cmp_ne_u32_e32 vcc, 0, v14
	v_lshrrev_b32_e32 v20, 8, v15
	v_bfe_u32 v21, v15, 20, 11
	v_sub_u32_e32 v22, 0x3f1, v12
	v_cndmask_b32_e64 v14, 0, 1, vcc
	v_and_or_b32 v9, v10, s15, v9
	v_sub_u32_e32 v23, 0x3f1, v21
	v_med3_i32 v10, v22, 0, 13
	v_and_or_b32 v14, v20, s15, v14
	v_or_b32_e32 v22, 0x1000, v9
	v_add_u32_e32 v12, 0xfffffc10, v12
	v_med3_i32 v20, v23, 0, 13
	v_cmp_ne_u32_e32 vcc, 0, v9
	v_or_b32_e32 v24, 0x1000, v14
	v_lshrrev_b32_e32 v26, v10, v22
	v_add_u32_e32 v21, 0xfffffc10, v21
	v_lshl_or_b32 v23, v12, 12, v9
	v_cndmask_b32_e64 v9, 0, 1, vcc
	v_cmp_ne_u32_e32 vcc, 0, v14
	v_lshrrev_b32_e32 v27, v20, v24
	v_lshlrev_b32_e32 v10, v10, v26
	v_lshl_or_b32 v25, v21, 12, v14
	v_cndmask_b32_e64 v14, 0, 1, vcc
	v_lshlrev_b32_e32 v20, v20, v27
	v_cmp_ne_u32_e32 vcc, v10, v22
	v_lshl_or_b32 v9, v9, 9, v6
	v_lshl_or_b32 v14, v14, 9, v6
	v_cndmask_b32_e64 v10, 0, 1, vcc
	v_cmp_ne_u32_e32 vcc, v20, v24
	v_or_b32_e32 v10, v26, v10
	v_and_b32_sdwa v13, v13, s14 dst_sel:DWORD dst_unused:UNUSED_PAD src0_sel:WORD_1 src1_sel:DWORD
	v_cndmask_b32_e64 v20, 0, 1, vcc
	v_cmp_gt_i32_e32 vcc, 1, v12
	v_or_b32_e32 v20, v27, v20
	v_lshrrev_b32_e32 v15, 16, v15
	v_cndmask_b32_e32 v10, v23, v10, vcc
	v_cmp_gt_i32_e32 vcc, 1, v21
	v_and_b32_e32 v22, 7, v10
	v_cmp_eq_u32_e64 s[0:1], 3, v22
	v_cndmask_b32_e32 v20, v25, v20, vcc
	v_cmp_lt_i32_e32 vcc, 5, v22
	v_lshrrev_b32_e32 v10, 2, v10
	v_and_b32_e32 v23, 7, v20
	s_or_b64 vcc, s[0:1], vcc
	v_cmp_lt_i32_e64 s[2:3], 5, v23
	v_cmp_eq_u32_e64 s[4:5], 3, v23
	v_addc_co_u32_e32 v10, vcc, 0, v10, vcc
	v_lshrrev_b32_e32 v20, 2, v20
	s_or_b64 vcc, s[4:5], s[2:3]
	v_addc_co_u32_e32 v20, vcc, 0, v20, vcc
	v_cmp_gt_i32_e32 vcc, 31, v12
	s_nop 1
	v_cndmask_b32_e32 v10, v6, v10, vcc
	v_cmp_gt_i32_e32 vcc, 31, v21
	s_nop 1
	v_cndmask_b32_e32 v20, v6, v20, vcc
	v_cmp_eq_u32_e32 vcc, s10, v12
	s_nop 1
	v_cndmask_b32_e32 v9, v10, v9, vcc
	v_cmp_eq_u32_e32 vcc, s10, v21
	v_bitop3_b32 v9, v13, s17, v9 bitop3:0xc8
	v_mad_u64_u32 v[12:13], s[0:1], s8, v17, 0
	v_cndmask_b32_e32 v10, v20, v14, vcc
	v_and_or_b32 v10, v15, s14, v10
	v_lshl_or_b32 v9, v10, 16, v9
	global_store_dword v[4:5], v9, off
	global_load_dword v9, v19, s[12:13]
	v_mov_b32_e32 v10, v13
	v_mad_u64_u32 v[14:15], s[0:1], s9, v17, v[10:11]
	v_lshrrev_b32_e32 v10, 16, v11
	s_waitcnt vmcnt(0)
	v_mul_f16_sdwa v13, v10, v9 dst_sel:DWORD dst_unused:UNUSED_PAD src0_sel:DWORD src1_sel:WORD_1
	v_mul_f16_sdwa v15, v11, v9 dst_sel:DWORD dst_unused:UNUSED_PAD src0_sel:DWORD src1_sel:WORD_1
	v_fma_f16 v11, v11, v9, v13
	v_fma_f16 v9, v9, v10, -v15
	v_cvt_f32_f16_e32 v15, v11
	v_cvt_f32_f16_e32 v9, v9
	v_mov_b32_e32 v13, v14
	v_lshl_add_u64 v[10:11], v[12:13], 2, v[0:1]
	v_cvt_f64_f32_e32 v[12:13], v15
	v_cvt_f64_f32_e32 v[14:15], v9
	v_mul_f64 v[12:13], v[12:13], s[6:7]
	v_mul_f64 v[14:15], v[14:15], s[6:7]
	v_and_or_b32 v9, v13, s16, v12
	v_and_or_b32 v14, v15, s16, v14
	v_cmp_ne_u32_e32 vcc, 0, v9
	v_lshrrev_b32_e32 v12, 8, v13
	v_bfe_u32 v17, v13, 20, 11
	v_cndmask_b32_e64 v9, 0, 1, vcc
	v_cmp_ne_u32_e32 vcc, 0, v14
	v_lshrrev_b32_e32 v19, 8, v15
	v_bfe_u32 v20, v15, 20, 11
	v_sub_u32_e32 v21, 0x3f1, v17
	v_cndmask_b32_e64 v14, 0, 1, vcc
	v_and_or_b32 v9, v12, s15, v9
	v_sub_u32_e32 v22, 0x3f1, v20
	v_med3_i32 v12, v21, 0, 13
	v_and_or_b32 v14, v19, s15, v14
	v_or_b32_e32 v21, 0x1000, v9
	v_add_u32_e32 v17, 0xfffffc10, v17
	v_med3_i32 v19, v22, 0, 13
	v_cmp_ne_u32_e32 vcc, 0, v9
	v_or_b32_e32 v23, 0x1000, v14
	v_lshrrev_b32_e32 v25, v12, v21
	v_add_u32_e32 v20, 0xfffffc10, v20
	v_lshl_or_b32 v22, v17, 12, v9
	v_cndmask_b32_e64 v9, 0, 1, vcc
	v_cmp_ne_u32_e32 vcc, 0, v14
	v_lshrrev_b32_e32 v26, v19, v23
	v_lshlrev_b32_e32 v12, v12, v25
	v_lshl_or_b32 v24, v20, 12, v14
	v_cndmask_b32_e64 v14, 0, 1, vcc
	v_lshlrev_b32_e32 v19, v19, v26
	v_cmp_ne_u32_e32 vcc, v12, v21
	v_lshl_or_b32 v9, v9, 9, v6
	v_lshl_or_b32 v14, v14, 9, v6
	v_cndmask_b32_e64 v12, 0, 1, vcc
	v_cmp_ne_u32_e32 vcc, v19, v23
	v_or_b32_e32 v12, v25, v12
	v_and_b32_sdwa v13, v13, s14 dst_sel:DWORD dst_unused:UNUSED_PAD src0_sel:WORD_1 src1_sel:DWORD
	v_cndmask_b32_e64 v19, 0, 1, vcc
	v_cmp_gt_i32_e32 vcc, 1, v17
	v_or_b32_e32 v19, v26, v19
	v_lshrrev_b32_e32 v15, 16, v15
	v_cndmask_b32_e32 v12, v22, v12, vcc
	v_cmp_gt_i32_e32 vcc, 1, v20
	v_and_b32_e32 v21, 7, v12
	v_cmp_eq_u32_e64 s[0:1], 3, v21
	v_cndmask_b32_e32 v19, v24, v19, vcc
	v_cmp_lt_i32_e32 vcc, 5, v21
	v_lshrrev_b32_e32 v12, 2, v12
	v_and_b32_e32 v22, 7, v19
	s_or_b64 vcc, s[0:1], vcc
	v_cmp_lt_i32_e64 s[2:3], 5, v22
	v_cmp_eq_u32_e64 s[4:5], 3, v22
	v_addc_co_u32_e32 v12, vcc, 0, v12, vcc
	v_lshrrev_b32_e32 v19, 2, v19
	s_or_b64 vcc, s[4:5], s[2:3]
	v_addc_co_u32_e32 v19, vcc, 0, v19, vcc
	v_cmp_gt_i32_e32 vcc, 31, v17
	v_mad_u64_u32 v[4:5], s[0:1], s8, v8, v[4:5]
	s_nop 0
	v_cndmask_b32_e32 v12, v6, v12, vcc
	v_cmp_gt_i32_e32 vcc, 31, v20
	v_add_u32_e32 v5, s18, v5
	s_nop 0
	v_cndmask_b32_e32 v19, v6, v19, vcc
	v_cmp_eq_u32_e32 vcc, s10, v17
	s_nop 1
	v_cndmask_b32_e32 v9, v12, v9, vcc
	v_cmp_eq_u32_e32 vcc, s10, v20
	v_bitop3_b32 v9, v13, s17, v9 bitop3:0xc8
	s_nop 0
	v_cndmask_b32_e32 v12, v19, v14, vcc
	v_and_or_b32 v12, v15, s14, v12
	v_lshl_or_b32 v9, v12, 16, v9
	global_store_dword v[10:11], v9, off
	global_load_dword v9, v[2:3], off offset:896
	v_add_u32_e32 v10, 0x1200, v18
	ds_read2_b32 v[10:11], v10 offset0:96 offset1:192
	s_waitcnt lgkmcnt(0)
	v_lshrrev_b32_e32 v12, 16, v10
	s_waitcnt vmcnt(0)
	v_mul_f16_sdwa v13, v12, v9 dst_sel:DWORD dst_unused:UNUSED_PAD src0_sel:DWORD src1_sel:WORD_1
	v_mul_f16_sdwa v14, v10, v9 dst_sel:DWORD dst_unused:UNUSED_PAD src0_sel:DWORD src1_sel:WORD_1
	v_fma_f16 v10, v10, v9, v13
	v_fma_f16 v9, v9, v12, -v14
	v_cvt_f32_f16_e32 v10, v10
	v_cvt_f32_f16_e32 v12, v9
	v_cvt_f64_f32_e32 v[8:9], v10
	v_cvt_f64_f32_e32 v[12:13], v12
	v_mul_f64 v[8:9], v[8:9], s[6:7]
	v_mul_f64 v[12:13], v[12:13], s[6:7]
	v_and_or_b32 v8, v9, s16, v8
	v_and_or_b32 v12, v13, s16, v12
	v_cmp_ne_u32_e32 vcc, 0, v8
	v_lshrrev_b32_e32 v10, 8, v9
	v_bfe_u32 v14, v9, 20, 11
	v_cndmask_b32_e64 v8, 0, 1, vcc
	v_cmp_ne_u32_e32 vcc, 0, v12
	v_lshrrev_b32_e32 v15, 8, v13
	v_bfe_u32 v17, v13, 20, 11
	v_sub_u32_e32 v19, 0x3f1, v14
	v_cndmask_b32_e64 v12, 0, 1, vcc
	v_and_or_b32 v8, v10, s15, v8
	v_sub_u32_e32 v20, 0x3f1, v17
	v_med3_i32 v10, v19, 0, 13
	v_and_or_b32 v12, v15, s15, v12
	v_or_b32_e32 v19, 0x1000, v8
	v_add_u32_e32 v14, 0xfffffc10, v14
	v_med3_i32 v15, v20, 0, 13
	v_cmp_ne_u32_e32 vcc, 0, v8
	v_or_b32_e32 v21, 0x1000, v12
	v_lshrrev_b32_e32 v23, v10, v19
	v_add_u32_e32 v17, 0xfffffc10, v17
	v_lshl_or_b32 v20, v14, 12, v8
	v_cndmask_b32_e64 v8, 0, 1, vcc
	v_cmp_ne_u32_e32 vcc, 0, v12
	v_lshrrev_b32_e32 v24, v15, v21
	v_lshlrev_b32_e32 v10, v10, v23
	v_lshl_or_b32 v22, v17, 12, v12
	v_cndmask_b32_e64 v12, 0, 1, vcc
	v_lshlrev_b32_e32 v15, v15, v24
	v_cmp_ne_u32_e32 vcc, v10, v19
	v_lshl_or_b32 v8, v8, 9, v6
	v_lshl_or_b32 v12, v12, 9, v6
	v_cndmask_b32_e64 v10, 0, 1, vcc
	v_cmp_ne_u32_e32 vcc, v15, v21
	v_or_b32_e32 v10, v23, v10
	v_and_b32_sdwa v9, v9, s14 dst_sel:DWORD dst_unused:UNUSED_PAD src0_sel:WORD_1 src1_sel:DWORD
	v_cndmask_b32_e64 v15, 0, 1, vcc
	v_cmp_gt_i32_e32 vcc, 1, v14
	v_or_b32_e32 v15, v24, v15
	v_lshrrev_b32_e32 v13, 16, v13
	v_cndmask_b32_e32 v10, v20, v10, vcc
	v_cmp_gt_i32_e32 vcc, 1, v17
	v_and_b32_e32 v19, 7, v10
	v_cmp_eq_u32_e64 s[0:1], 3, v19
	v_cndmask_b32_e32 v15, v22, v15, vcc
	v_cmp_lt_i32_e32 vcc, 5, v19
	v_lshrrev_b32_e32 v10, 2, v10
	v_and_b32_e32 v20, 7, v15
	s_or_b64 vcc, s[0:1], vcc
	v_cmp_lt_i32_e64 s[2:3], 5, v20
	v_cmp_eq_u32_e64 s[4:5], 3, v20
	v_addc_co_u32_e32 v10, vcc, 0, v10, vcc
	v_lshrrev_b32_e32 v15, 2, v15
	s_or_b64 vcc, s[4:5], s[2:3]
	v_addc_co_u32_e32 v15, vcc, 0, v15, vcc
	v_cmp_gt_i32_e32 vcc, 31, v14
	s_nop 1
	v_cndmask_b32_e32 v10, v6, v10, vcc
	v_cmp_gt_i32_e32 vcc, 31, v17
	s_nop 1
	v_cndmask_b32_e32 v15, v6, v15, vcc
	v_cmp_eq_u32_e32 vcc, s10, v14
	s_nop 1
	v_cndmask_b32_e32 v8, v10, v8, vcc
	v_cmp_eq_u32_e32 vcc, s10, v17
	v_bitop3_b32 v8, v9, s17, v8 bitop3:0xc8
	v_lshrrev_b32_e32 v9, 16, v11
	v_cndmask_b32_e32 v10, v15, v12, vcc
	v_and_or_b32 v10, v13, s14, v10
	v_lshl_or_b32 v8, v10, 16, v8
	global_store_dword v[4:5], v8, off
	global_load_dword v8, v[2:3], off offset:1280
	v_mad_u64_u32 v[4:5], s[0:1], s8, v7, v[4:5]
	v_add_u32_e32 v5, s11, v5
	s_waitcnt vmcnt(0)
	v_mul_f16_sdwa v10, v9, v8 dst_sel:DWORD dst_unused:UNUSED_PAD src0_sel:DWORD src1_sel:WORD_1
	v_mul_f16_sdwa v12, v11, v8 dst_sel:DWORD dst_unused:UNUSED_PAD src0_sel:DWORD src1_sel:WORD_1
	v_fma_f16 v10, v11, v8, v10
	v_fma_f16 v8, v8, v9, -v12
	v_cvt_f32_f16_e32 v9, v10
	v_cvt_f32_f16_e32 v10, v8
	v_cvt_f64_f32_e32 v[8:9], v9
	v_cvt_f64_f32_e32 v[10:11], v10
	v_mul_f64 v[8:9], v[8:9], s[6:7]
	v_mul_f64 v[10:11], v[10:11], s[6:7]
	v_and_or_b32 v8, v9, s16, v8
	v_and_or_b32 v10, v11, s16, v10
	v_cmp_ne_u32_e32 vcc, 0, v8
	v_lshrrev_b32_e32 v12, 8, v9
	v_bfe_u32 v13, v9, 20, 11
	v_cndmask_b32_e64 v8, 0, 1, vcc
	v_cmp_ne_u32_e32 vcc, 0, v10
	v_lshrrev_b32_e32 v14, 8, v11
	v_bfe_u32 v15, v11, 20, 11
	v_sub_u32_e32 v17, 0x3f1, v13
	v_cndmask_b32_e64 v10, 0, 1, vcc
	v_and_or_b32 v8, v12, s15, v8
	v_sub_u32_e32 v19, 0x3f1, v15
	v_med3_i32 v12, v17, 0, 13
	v_and_or_b32 v10, v14, s15, v10
	v_or_b32_e32 v17, 0x1000, v8
	v_add_u32_e32 v13, 0xfffffc10, v13
	v_med3_i32 v14, v19, 0, 13
	v_cmp_ne_u32_e32 vcc, 0, v8
	v_or_b32_e32 v20, 0x1000, v10
	v_lshrrev_b32_e32 v22, v12, v17
	v_add_u32_e32 v15, 0xfffffc10, v15
	v_lshl_or_b32 v19, v13, 12, v8
	v_cndmask_b32_e64 v8, 0, 1, vcc
	v_cmp_ne_u32_e32 vcc, 0, v10
	v_lshrrev_b32_e32 v23, v14, v20
	v_lshlrev_b32_e32 v12, v12, v22
	v_lshl_or_b32 v21, v15, 12, v10
	v_cndmask_b32_e64 v10, 0, 1, vcc
	v_lshlrev_b32_e32 v14, v14, v23
	v_cmp_ne_u32_e32 vcc, v12, v17
	v_lshl_or_b32 v8, v8, 9, v6
	v_lshl_or_b32 v10, v10, 9, v6
	v_cndmask_b32_e64 v12, 0, 1, vcc
	v_cmp_ne_u32_e32 vcc, v14, v20
	v_or_b32_e32 v12, v22, v12
	v_and_b32_sdwa v9, v9, s14 dst_sel:DWORD dst_unused:UNUSED_PAD src0_sel:WORD_1 src1_sel:DWORD
	v_cndmask_b32_e64 v14, 0, 1, vcc
	v_cmp_gt_i32_e32 vcc, 1, v13
	v_or_b32_e32 v14, v23, v14
	v_lshrrev_b32_e32 v11, 16, v11
	v_cndmask_b32_e32 v12, v19, v12, vcc
	v_cmp_gt_i32_e32 vcc, 1, v15
	v_and_b32_e32 v17, 7, v12
	v_cmp_eq_u32_e64 s[0:1], 3, v17
	v_cndmask_b32_e32 v14, v21, v14, vcc
	v_cmp_lt_i32_e32 vcc, 5, v17
	v_lshrrev_b32_e32 v12, 2, v12
	v_and_b32_e32 v19, 7, v14
	s_or_b64 vcc, s[0:1], vcc
	v_cmp_lt_i32_e64 s[2:3], 5, v19
	v_cmp_eq_u32_e64 s[4:5], 3, v19
	v_addc_co_u32_e32 v12, vcc, 0, v12, vcc
	v_lshrrev_b32_e32 v14, 2, v14
	s_or_b64 vcc, s[4:5], s[2:3]
	v_addc_co_u32_e32 v14, vcc, 0, v14, vcc
	v_cmp_gt_i32_e32 vcc, 31, v13
	s_nop 1
	v_cndmask_b32_e32 v12, v6, v12, vcc
	v_cmp_gt_i32_e32 vcc, 31, v15
	s_nop 1
	v_cndmask_b32_e32 v14, v6, v14, vcc
	v_cmp_eq_u32_e32 vcc, s10, v13
	s_nop 1
	v_cndmask_b32_e32 v8, v12, v8, vcc
	v_cmp_eq_u32_e32 vcc, s10, v15
	v_bitop3_b32 v8, v9, s17, v8 bitop3:0xc8
	v_or_b32_e32 v12, 0x600, v16
	v_cndmask_b32_e32 v10, v14, v10, vcc
	v_and_or_b32 v10, v11, s14, v10
	v_lshl_or_b32 v8, v10, 16, v8
	global_store_dword v[4:5], v8, off
	global_load_dword v8, v[2:3], off offset:1664
	v_add_u32_e32 v2, 0x1600, v18
	ds_read2_b32 v[2:3], v2 offset0:32 offset1:128
	v_mad_u64_u32 v[4:5], s[0:1], s8, v7, v[4:5]
	v_add_u32_e32 v5, s11, v5
	v_lshlrev_b32_e32 v13, 2, v12
	s_waitcnt lgkmcnt(0)
	v_lshrrev_b32_e32 v9, 16, v2
	s_waitcnt vmcnt(0)
	v_mul_f16_sdwa v10, v9, v8 dst_sel:DWORD dst_unused:UNUSED_PAD src0_sel:DWORD src1_sel:WORD_1
	v_mul_f16_sdwa v11, v2, v8 dst_sel:DWORD dst_unused:UNUSED_PAD src0_sel:DWORD src1_sel:WORD_1
	v_fma_f16 v2, v2, v8, v10
	v_fma_f16 v8, v8, v9, -v11
	v_cvt_f32_f16_e32 v2, v2
	v_cvt_f32_f16_e32 v10, v8
	v_cvt_f64_f32_e32 v[8:9], v2
	v_cvt_f64_f32_e32 v[10:11], v10
	v_mul_f64 v[8:9], v[8:9], s[6:7]
	v_mul_f64 v[10:11], v[10:11], s[6:7]
	v_and_or_b32 v2, v9, s16, v8
	v_and_or_b32 v10, v11, s16, v10
	v_cmp_ne_u32_e32 vcc, 0, v2
	v_lshrrev_b32_e32 v7, 8, v9
	v_bfe_u32 v8, v9, 20, 11
	v_cndmask_b32_e64 v2, 0, 1, vcc
	v_cmp_ne_u32_e32 vcc, 0, v10
	v_lshrrev_b32_e32 v14, 8, v11
	v_bfe_u32 v15, v11, 20, 11
	v_sub_u32_e32 v16, 0x3f1, v8
	v_cndmask_b32_e64 v10, 0, 1, vcc
	v_and_or_b32 v2, v7, s15, v2
	v_sub_u32_e32 v17, 0x3f1, v15
	v_med3_i32 v7, v16, 0, 13
	v_and_or_b32 v10, v14, s15, v10
	v_or_b32_e32 v16, 0x1000, v2
	v_add_u32_e32 v8, 0xfffffc10, v8
	v_med3_i32 v14, v17, 0, 13
	v_cmp_ne_u32_e32 vcc, 0, v2
	v_or_b32_e32 v18, 0x1000, v10
	v_lshrrev_b32_e32 v20, v7, v16
	v_add_u32_e32 v15, 0xfffffc10, v15
	v_lshl_or_b32 v17, v8, 12, v2
	v_cndmask_b32_e64 v2, 0, 1, vcc
	v_cmp_ne_u32_e32 vcc, 0, v10
	v_lshrrev_b32_e32 v21, v14, v18
	v_lshlrev_b32_e32 v7, v7, v20
	v_lshl_or_b32 v19, v15, 12, v10
	v_cndmask_b32_e64 v10, 0, 1, vcc
	v_lshlrev_b32_e32 v14, v14, v21
	v_cmp_ne_u32_e32 vcc, v7, v16
	v_lshl_or_b32 v2, v2, 9, v6
	v_lshl_or_b32 v10, v10, 9, v6
	v_cndmask_b32_e64 v7, 0, 1, vcc
	v_cmp_ne_u32_e32 vcc, v14, v18
	v_or_b32_e32 v7, v20, v7
	v_and_b32_sdwa v9, v9, s14 dst_sel:DWORD dst_unused:UNUSED_PAD src0_sel:WORD_1 src1_sel:DWORD
	v_cndmask_b32_e64 v14, 0, 1, vcc
	v_cmp_gt_i32_e32 vcc, 1, v8
	v_or_b32_e32 v14, v21, v14
	v_lshrrev_b32_e32 v11, 16, v11
	v_cndmask_b32_e32 v7, v17, v7, vcc
	v_cmp_gt_i32_e32 vcc, 1, v15
	v_and_b32_e32 v16, 7, v7
	v_cmp_eq_u32_e64 s[0:1], 3, v16
	v_cndmask_b32_e32 v14, v19, v14, vcc
	v_cmp_lt_i32_e32 vcc, 5, v16
	v_lshrrev_b32_e32 v7, 2, v7
	v_and_b32_e32 v17, 7, v14
	s_or_b64 vcc, s[0:1], vcc
	v_cmp_lt_i32_e64 s[2:3], 5, v17
	v_cmp_eq_u32_e64 s[4:5], 3, v17
	v_addc_co_u32_e32 v7, vcc, 0, v7, vcc
	v_lshrrev_b32_e32 v14, 2, v14
	s_or_b64 vcc, s[4:5], s[2:3]
	v_addc_co_u32_e32 v14, vcc, 0, v14, vcc
	v_cmp_gt_i32_e32 vcc, 31, v8
	s_nop 1
	v_cndmask_b32_e32 v7, v6, v7, vcc
	v_cmp_gt_i32_e32 vcc, 31, v15
	s_nop 1
	v_cndmask_b32_e32 v14, v6, v14, vcc
	v_cmp_eq_u32_e32 vcc, s10, v8
	s_nop 1
	v_cndmask_b32_e32 v2, v7, v2, vcc
	v_cmp_eq_u32_e32 vcc, s10, v15
	v_bitop3_b32 v2, v9, s17, v2 bitop3:0xc8
	s_nop 0
	v_cndmask_b32_e32 v7, v14, v10, vcc
	v_and_or_b32 v7, v11, s14, v7
	v_lshl_or_b32 v2, v7, 16, v2
	global_store_dword v[4:5], v2, off
	global_load_dword v7, v13, s[12:13]
	v_mad_u64_u32 v[4:5], s[0:1], s8, v12, 0
	v_mov_b32_e32 v2, v5
	v_lshrrev_b32_e32 v5, 16, v3
	s_waitcnt vmcnt(0)
	v_mul_f16_sdwa v8, v5, v7 dst_sel:DWORD dst_unused:UNUSED_PAD src0_sel:DWORD src1_sel:WORD_1
	v_mul_f16_sdwa v9, v3, v7 dst_sel:DWORD dst_unused:UNUSED_PAD src0_sel:DWORD src1_sel:WORD_1
	v_fma_f16 v3, v3, v7, v8
	v_fma_f16 v5, v7, v5, -v9
	v_cvt_f32_f16_e32 v7, v3
	v_cvt_f32_f16_e32 v8, v5
	v_mad_u64_u32 v[2:3], s[0:1], s9, v12, v[2:3]
	v_mov_b32_e32 v5, v2
	v_cvt_f64_f32_e32 v[2:3], v7
	v_cvt_f64_f32_e32 v[8:9], v8
	v_mul_f64 v[2:3], v[2:3], s[6:7]
	v_mul_f64 v[8:9], v[8:9], s[6:7]
	v_and_or_b32 v2, v3, s16, v2
	v_and_or_b32 v8, v9, s16, v8
	v_cmp_ne_u32_e32 vcc, 0, v2
	v_lshrrev_b32_e32 v7, 8, v3
	v_bfe_u32 v10, v3, 20, 11
	v_cndmask_b32_e64 v2, 0, 1, vcc
	v_cmp_ne_u32_e32 vcc, 0, v8
	v_lshrrev_b32_e32 v11, 8, v9
	v_bfe_u32 v12, v9, 20, 11
	v_sub_u32_e32 v13, 0x3f1, v10
	v_cndmask_b32_e64 v8, 0, 1, vcc
	v_and_or_b32 v2, v7, s15, v2
	v_sub_u32_e32 v14, 0x3f1, v12
	v_med3_i32 v7, v13, 0, 13
	v_and_or_b32 v8, v11, s15, v8
	v_or_b32_e32 v13, 0x1000, v2
	v_add_u32_e32 v10, 0xfffffc10, v10
	v_med3_i32 v11, v14, 0, 13
	v_cmp_ne_u32_e32 vcc, 0, v2
	v_or_b32_e32 v15, 0x1000, v8
	v_lshrrev_b32_e32 v17, v7, v13
	v_add_u32_e32 v12, 0xfffffc10, v12
	v_lshl_or_b32 v14, v10, 12, v2
	v_cndmask_b32_e64 v2, 0, 1, vcc
	v_cmp_ne_u32_e32 vcc, 0, v8
	v_lshrrev_b32_e32 v18, v11, v15
	v_lshlrev_b32_e32 v7, v7, v17
	v_lshl_or_b32 v16, v12, 12, v8
	v_cndmask_b32_e64 v8, 0, 1, vcc
	v_lshlrev_b32_e32 v11, v11, v18
	v_cmp_ne_u32_e32 vcc, v7, v13
	v_lshl_or_b32 v2, v2, 9, v6
	v_lshl_or_b32 v8, v8, 9, v6
	v_cndmask_b32_e64 v7, 0, 1, vcc
	v_cmp_ne_u32_e32 vcc, v11, v15
	v_or_b32_e32 v7, v17, v7
	v_and_b32_sdwa v3, v3, s14 dst_sel:DWORD dst_unused:UNUSED_PAD src0_sel:WORD_1 src1_sel:DWORD
	v_cndmask_b32_e64 v11, 0, 1, vcc
	v_cmp_gt_i32_e32 vcc, 1, v10
	v_or_b32_e32 v11, v18, v11
	v_lshrrev_b32_e32 v9, 16, v9
	v_cndmask_b32_e32 v7, v14, v7, vcc
	v_cmp_gt_i32_e32 vcc, 1, v12
	v_and_b32_e32 v13, 7, v7
	v_cmp_eq_u32_e64 s[0:1], 3, v13
	v_cndmask_b32_e32 v11, v16, v11, vcc
	v_cmp_lt_i32_e32 vcc, 5, v13
	v_lshrrev_b32_e32 v7, 2, v7
	v_and_b32_e32 v14, 7, v11
	s_or_b64 vcc, s[0:1], vcc
	v_cmp_lt_i32_e64 s[2:3], 5, v14
	v_cmp_eq_u32_e64 s[4:5], 3, v14
	v_addc_co_u32_e32 v7, vcc, 0, v7, vcc
	v_lshrrev_b32_e32 v11, 2, v11
	s_or_b64 vcc, s[4:5], s[2:3]
	v_addc_co_u32_e32 v11, vcc, 0, v11, vcc
	v_cmp_gt_i32_e32 vcc, 31, v10
	v_lshl_add_u64 v[0:1], v[4:5], 2, v[0:1]
	s_nop 0
	v_cndmask_b32_e32 v7, v6, v7, vcc
	v_cmp_gt_i32_e32 vcc, 31, v12
	s_nop 1
	v_cndmask_b32_e32 v6, v6, v11, vcc
	v_cmp_eq_u32_e32 vcc, s10, v10
	s_nop 1
	v_cndmask_b32_e32 v2, v7, v2, vcc
	v_cmp_eq_u32_e32 vcc, s10, v12
	v_bitop3_b32 v2, v3, s17, v2 bitop3:0xc8
	s_nop 0
	v_cndmask_b32_e32 v6, v6, v8, vcc
	v_and_or_b32 v6, v9, s14, v6
	v_lshl_or_b32 v2, v6, 16, v2
	global_store_dword v[0:1], v2, off
.LBB0_23:
	s_endpgm
	.section	.rodata,"a",@progbits
	.p2align	6, 0x0
	.amdhsa_kernel bluestein_single_fwd_len1632_dim1_half_op_CI_CI
		.amdhsa_group_segment_fixed_size 6528
		.amdhsa_private_segment_fixed_size 0
		.amdhsa_kernarg_size 104
		.amdhsa_user_sgpr_count 2
		.amdhsa_user_sgpr_dispatch_ptr 0
		.amdhsa_user_sgpr_queue_ptr 0
		.amdhsa_user_sgpr_kernarg_segment_ptr 1
		.amdhsa_user_sgpr_dispatch_id 0
		.amdhsa_user_sgpr_kernarg_preload_length 0
		.amdhsa_user_sgpr_kernarg_preload_offset 0
		.amdhsa_user_sgpr_private_segment_size 0
		.amdhsa_uses_dynamic_stack 0
		.amdhsa_enable_private_segment 0
		.amdhsa_system_sgpr_workgroup_id_x 1
		.amdhsa_system_sgpr_workgroup_id_y 0
		.amdhsa_system_sgpr_workgroup_id_z 0
		.amdhsa_system_sgpr_workgroup_info 0
		.amdhsa_system_vgpr_workitem_id 0
		.amdhsa_next_free_vgpr 281
		.amdhsa_next_free_sgpr 35
		.amdhsa_accum_offset 256
		.amdhsa_reserve_vcc 1
		.amdhsa_float_round_mode_32 0
		.amdhsa_float_round_mode_16_64 0
		.amdhsa_float_denorm_mode_32 3
		.amdhsa_float_denorm_mode_16_64 3
		.amdhsa_dx10_clamp 1
		.amdhsa_ieee_mode 1
		.amdhsa_fp16_overflow 0
		.amdhsa_tg_split 0
		.amdhsa_exception_fp_ieee_invalid_op 0
		.amdhsa_exception_fp_denorm_src 0
		.amdhsa_exception_fp_ieee_div_zero 0
		.amdhsa_exception_fp_ieee_overflow 0
		.amdhsa_exception_fp_ieee_underflow 0
		.amdhsa_exception_fp_ieee_inexact 0
		.amdhsa_exception_int_div_zero 0
	.end_amdhsa_kernel
	.text
.Lfunc_end0:
	.size	bluestein_single_fwd_len1632_dim1_half_op_CI_CI, .Lfunc_end0-bluestein_single_fwd_len1632_dim1_half_op_CI_CI
                                        ; -- End function
	.section	.AMDGPU.csdata,"",@progbits
; Kernel info:
; codeLenInByte = 33188
; NumSgprs: 41
; NumVgprs: 256
; NumAgprs: 25
; TotalNumVgprs: 281
; ScratchSize: 0
; MemoryBound: 0
; FloatMode: 240
; IeeeMode: 1
; LDSByteSize: 6528 bytes/workgroup (compile time only)
; SGPRBlocks: 5
; VGPRBlocks: 35
; NumSGPRsForWavesPerEU: 41
; NumVGPRsForWavesPerEU: 281
; AccumOffset: 256
; Occupancy: 1
; WaveLimiterHint : 1
; COMPUTE_PGM_RSRC2:SCRATCH_EN: 0
; COMPUTE_PGM_RSRC2:USER_SGPR: 2
; COMPUTE_PGM_RSRC2:TRAP_HANDLER: 0
; COMPUTE_PGM_RSRC2:TGID_X_EN: 1
; COMPUTE_PGM_RSRC2:TGID_Y_EN: 0
; COMPUTE_PGM_RSRC2:TGID_Z_EN: 0
; COMPUTE_PGM_RSRC2:TIDIG_COMP_CNT: 0
; COMPUTE_PGM_RSRC3_GFX90A:ACCUM_OFFSET: 63
; COMPUTE_PGM_RSRC3_GFX90A:TG_SPLIT: 0
	.text
	.p2alignl 6, 3212836864
	.fill 256, 4, 3212836864
	.type	__hip_cuid_4d66726c4ec7f2ac,@object ; @__hip_cuid_4d66726c4ec7f2ac
	.section	.bss,"aw",@nobits
	.globl	__hip_cuid_4d66726c4ec7f2ac
__hip_cuid_4d66726c4ec7f2ac:
	.byte	0                               ; 0x0
	.size	__hip_cuid_4d66726c4ec7f2ac, 1

	.ident	"AMD clang version 19.0.0git (https://github.com/RadeonOpenCompute/llvm-project roc-6.4.0 25133 c7fe45cf4b819c5991fe208aaa96edf142730f1d)"
	.section	".note.GNU-stack","",@progbits
	.addrsig
	.addrsig_sym __hip_cuid_4d66726c4ec7f2ac
	.amdgpu_metadata
---
amdhsa.kernels:
  - .agpr_count:     25
    .args:
      - .actual_access:  read_only
        .address_space:  global
        .offset:         0
        .size:           8
        .value_kind:     global_buffer
      - .actual_access:  read_only
        .address_space:  global
        .offset:         8
        .size:           8
        .value_kind:     global_buffer
      - .actual_access:  read_only
        .address_space:  global
        .offset:         16
        .size:           8
        .value_kind:     global_buffer
      - .actual_access:  read_only
        .address_space:  global
        .offset:         24
        .size:           8
        .value_kind:     global_buffer
      - .actual_access:  read_only
        .address_space:  global
        .offset:         32
        .size:           8
        .value_kind:     global_buffer
      - .offset:         40
        .size:           8
        .value_kind:     by_value
      - .address_space:  global
        .offset:         48
        .size:           8
        .value_kind:     global_buffer
      - .address_space:  global
        .offset:         56
        .size:           8
        .value_kind:     global_buffer
      - .address_space:  global
        .offset:         64
        .size:           8
        .value_kind:     global_buffer
      - .address_space:  global
        .offset:         72
        .size:           8
        .value_kind:     global_buffer
      - .offset:         80
        .size:           4
        .value_kind:     by_value
      - .address_space:  global
        .offset:         88
        .size:           8
        .value_kind:     global_buffer
      - .address_space:  global
        .offset:         96
        .size:           8
        .value_kind:     global_buffer
    .group_segment_fixed_size: 6528
    .kernarg_segment_align: 8
    .kernarg_segment_size: 104
    .language:       OpenCL C
    .language_version:
      - 2
      - 0
    .max_flat_workgroup_size: 102
    .name:           bluestein_single_fwd_len1632_dim1_half_op_CI_CI
    .private_segment_fixed_size: 0
    .sgpr_count:     41
    .sgpr_spill_count: 0
    .symbol:         bluestein_single_fwd_len1632_dim1_half_op_CI_CI.kd
    .uniform_work_group_size: 1
    .uses_dynamic_stack: false
    .vgpr_count:     281
    .vgpr_spill_count: 0
    .wavefront_size: 64
amdhsa.target:   amdgcn-amd-amdhsa--gfx950
amdhsa.version:
  - 1
  - 2
...

	.end_amdgpu_metadata
